;; amdgpu-corpus repo=ROCm/rocFFT kind=compiled arch=gfx1030 opt=O3
	.text
	.amdgcn_target "amdgcn-amd-amdhsa--gfx1030"
	.amdhsa_code_object_version 6
	.protected	bluestein_single_back_len357_dim1_half_op_CI_CI ; -- Begin function bluestein_single_back_len357_dim1_half_op_CI_CI
	.globl	bluestein_single_back_len357_dim1_half_op_CI_CI
	.p2align	8
	.type	bluestein_single_back_len357_dim1_half_op_CI_CI,@function
bluestein_single_back_len357_dim1_half_op_CI_CI: ; @bluestein_single_back_len357_dim1_half_op_CI_CI
; %bb.0:
	s_load_dwordx4 s[8:11], s[4:5], 0x28
	v_mul_u32_u24_e32 v1, 0xf10, v0
	s_mov_b32 s0, exec_lo
	v_lshrrev_b32_e32 v1, 16, v1
	v_mad_u64_u32 v[14:15], null, s6, 11, v[1:2]
	v_mov_b32_e32 v15, 0
	s_waitcnt lgkmcnt(0)
	v_cmpx_gt_u64_e64 s[8:9], v[14:15]
	s_cbranch_execz .LBB0_15
; %bb.1:
	s_clause 0x1
	s_load_dwordx4 s[0:3], s[4:5], 0x18
	s_load_dwordx2 s[16:17], s[4:5], 0x0
	v_mul_lo_u16 v1, v1, 17
	v_sub_nc_u16 v7, v0, v1
	v_and_b32_e32 v84, 0xffff, v7
	v_lshlrev_b32_e32 v49, 2, v84
	v_or_b32_e32 v69, 0x50, v84
	v_or_b32_e32 v68, 0xa4, v84
	s_waitcnt lgkmcnt(0)
	s_load_dwordx4 s[12:15], s[0:1], 0x0
	v_or_b32_e32 v67, 0xf8, v84
	global_load_dword v87, v49, s[16:17]
	v_or_b32_e32 v66, 0x14c, v84
	s_waitcnt lgkmcnt(0)
	v_mad_u64_u32 v[0:1], null, s14, v14, 0
	v_mad_u64_u32 v[2:3], null, s12, v84, 0
	s_mul_i32 s1, s13, 21
	s_mul_hi_u32 s6, s12, 21
	s_mul_i32 s0, s12, 21
	s_add_i32 s1, s6, s1
	s_load_dwordx2 s[6:7], s[4:5], 0x38
	v_mad_u64_u32 v[4:5], null, s15, v14, v[1:2]
	s_lshl_b64 s[14:15], s[0:1], 2
	v_add_co_u32 v12, s0, s16, v49
	v_add_co_ci_u32_e64 v13, null, s17, 0, s0
	v_mad_u64_u32 v[5:6], null, s13, v84, v[3:4]
	v_mov_b32_e32 v1, v4
	v_lshlrev_b64 v[0:1], 2, v[0:1]
	v_mov_b32_e32 v3, v5
	v_lshlrev_b64 v[4:5], 2, v[2:3]
	v_add_co_u32 v2, vcc_lo, s10, v0
	v_add_co_ci_u32_e32 v3, vcc_lo, s11, v1, vcc_lo
	v_add_co_u32 v0, vcc_lo, v2, v4
	v_add_co_ci_u32_e32 v1, vcc_lo, v3, v5, vcc_lo
	;; [unrolled: 2-line block ×3, first 2 shown]
	s_clause 0x1
	global_load_dword v6, v[0:1], off
	global_load_dword v8, v[4:5], off
	v_add_co_u32 v0, vcc_lo, v4, s14
	v_add_co_ci_u32_e32 v1, vcc_lo, s15, v5, vcc_lo
	v_add_co_u32 v4, vcc_lo, v0, s14
	v_add_co_ci_u32_e32 v5, vcc_lo, s15, v1, vcc_lo
	s_clause 0x1
	global_load_dword v86, v49, s[16:17] offset:84
	global_load_dword v85, v49, s[16:17] offset:168
	s_clause 0x1
	global_load_dword v9, v[0:1], off
	global_load_dword v10, v[4:5], off
	v_add_co_u32 v0, vcc_lo, v4, s14
	v_add_co_ci_u32_e32 v1, vcc_lo, s15, v5, vcc_lo
	s_clause 0x2
	global_load_dword v83, v49, s[16:17] offset:252
	global_load_dword v82, v49, s[16:17] offset:336
	;; [unrolled: 1-line block ×3, first 2 shown]
	v_add_co_u32 v4, vcc_lo, v0, s14
	v_add_co_ci_u32_e32 v5, vcc_lo, s15, v1, vcc_lo
	global_load_dword v11, v[0:1], off
	v_add_co_u32 v0, vcc_lo, v4, s14
	v_add_co_ci_u32_e32 v1, vcc_lo, s15, v5, vcc_lo
	global_load_dword v15, v[4:5], off
	v_add_co_u32 v4, vcc_lo, v0, s14
	v_add_co_ci_u32_e32 v5, vcc_lo, s15, v1, vcc_lo
	s_clause 0x1
	global_load_dword v80, v49, s[16:17] offset:504
	global_load_dword v79, v49, s[16:17] offset:588
	global_load_dword v16, v[0:1], off
	global_load_dword v17, v[4:5], off
	v_add_co_u32 v0, vcc_lo, v4, s14
	v_add_co_ci_u32_e32 v1, vcc_lo, s15, v5, vcc_lo
	s_clause 0x1
	global_load_dword v78, v49, s[16:17] offset:672
	global_load_dword v77, v49, s[16:17] offset:756
	v_add_co_u32 v4, vcc_lo, v0, s14
	v_add_co_ci_u32_e32 v5, vcc_lo, s15, v1, vcc_lo
	global_load_dword v18, v[0:1], off
	v_add_co_u32 v0, vcc_lo, v4, s14
	v_add_co_ci_u32_e32 v1, vcc_lo, s15, v5, vcc_lo
	global_load_dword v19, v[4:5], off
	v_add_co_u32 v4, vcc_lo, v0, s14
	v_add_co_ci_u32_e32 v5, vcc_lo, s15, v1, vcc_lo
	global_load_dword v76, v49, s[16:17] offset:840
	global_load_dword v20, v[0:1], off
	global_load_dword v21, v[4:5], off
	v_add_co_u32 v0, vcc_lo, v4, s14
	v_add_co_ci_u32_e32 v1, vcc_lo, s15, v5, vcc_lo
	s_clause 0x2
	global_load_dword v75, v49, s[16:17] offset:924
	global_load_dword v74, v49, s[16:17] offset:1008
	;; [unrolled: 1-line block ×3, first 2 shown]
	v_add_co_u32 v4, vcc_lo, v0, s14
	v_add_co_ci_u32_e32 v5, vcc_lo, s15, v1, vcc_lo
	global_load_dword v22, v[0:1], off
	v_add_co_u32 v0, vcc_lo, v4, s14
	v_add_co_ci_u32_e32 v1, vcc_lo, s15, v5, vcc_lo
	global_load_dword v23, v[4:5], off
	;; [unrolled: 3-line block ×3, first 2 shown]
	v_add_co_u32 v0, vcc_lo, v4, s14
	v_add_co_ci_u32_e32 v1, vcc_lo, s15, v5, vcc_lo
	global_load_dword v72, v49, s[16:17] offset:1176
	global_load_dword v25, v[4:5], off
	global_load_dword v26, v[0:1], off
	s_clause 0x1
	global_load_dword v71, v49, s[16:17] offset:1260
	global_load_dword v70, v49, s[16:17] offset:1344
	v_mul_hi_u32 v4, 0xba2e8ba3, v14
	v_cmp_gt_u16_e32 vcc_lo, 4, v7
	s_load_dwordx4 s[8:11], s[2:3], 0x0
	v_lshrrev_b32_e32 v4, 3, v4
	v_mul_lo_u32 v4, v4, 11
	v_sub_nc_u32_e32 v4, v14, v4
	v_mul_u32_u24_e32 v47, 0x165, v4
	v_lshlrev_b32_e32 v88, 2, v47
	v_add_nc_u32_e32 v65, v49, v88
	v_add_nc_u32_e32 v4, 0x200, v65
	;; [unrolled: 1-line block ×3, first 2 shown]
	s_waitcnt vmcnt(32)
	v_lshrrev_b32_e32 v7, 16, v6
	v_mul_f16_sdwa v27, v87, v6 dst_sel:DWORD dst_unused:UNUSED_PAD src0_sel:WORD_1 src1_sel:DWORD
	s_waitcnt vmcnt(31)
	v_lshrrev_b32_e32 v29, 16, v8
	v_mul_f16_sdwa v28, v87, v7 dst_sel:DWORD dst_unused:UNUSED_PAD src0_sel:WORD_1 src1_sel:DWORD
	v_fma_f16 v7, v87, v7, -v27
	s_waitcnt vmcnt(30)
	v_mul_f16_sdwa v30, v86, v8 dst_sel:DWORD dst_unused:UNUSED_PAD src0_sel:WORD_1 src1_sel:DWORD
	v_fmac_f16_e32 v28, v87, v6
	v_mul_f16_sdwa v6, v86, v29 dst_sel:DWORD dst_unused:UNUSED_PAD src0_sel:WORD_1 src1_sel:DWORD
	s_waitcnt vmcnt(28)
	v_lshrrev_b32_e32 v27, 16, v9
	v_fma_f16 v29, v86, v29, -v30
	v_mul_f16_sdwa v30, v85, v9 dst_sel:DWORD dst_unused:UNUSED_PAD src0_sel:WORD_1 src1_sel:DWORD
	v_pack_b32_f16 v7, v28, v7
	v_fmac_f16_e32 v6, v86, v8
	v_mul_f16_sdwa v8, v85, v27 dst_sel:DWORD dst_unused:UNUSED_PAD src0_sel:WORD_1 src1_sel:DWORD
	s_waitcnt vmcnt(27)
	v_lshrrev_b32_e32 v28, 16, v10
	s_waitcnt vmcnt(26)
	v_mul_f16_sdwa v31, v83, v10 dst_sel:DWORD dst_unused:UNUSED_PAD src0_sel:WORD_1 src1_sel:DWORD
	v_fma_f16 v27, v85, v27, -v30
	v_pack_b32_f16 v6, v6, v29
	v_fmac_f16_e32 v8, v85, v9
	v_mul_f16_sdwa v9, v83, v28 dst_sel:DWORD dst_unused:UNUSED_PAD src0_sel:WORD_1 src1_sel:DWORD
	s_waitcnt vmcnt(23)
	v_lshrrev_b32_e32 v29, 16, v11
	v_fma_f16 v28, v83, v28, -v31
	v_mul_f16_sdwa v30, v82, v11 dst_sel:DWORD dst_unused:UNUSED_PAD src0_sel:WORD_1 src1_sel:DWORD
	ds_write2_b32 v65, v7, v6 offset1:21
	v_pack_b32_f16 v6, v8, v27
	v_fmac_f16_e32 v9, v83, v10
	v_mul_f16_sdwa v7, v82, v29 dst_sel:DWORD dst_unused:UNUSED_PAD src0_sel:WORD_1 src1_sel:DWORD
	s_waitcnt vmcnt(22)
	v_lshrrev_b32_e32 v8, 16, v15
	v_mul_f16_sdwa v10, v81, v15 dst_sel:DWORD dst_unused:UNUSED_PAD src0_sel:WORD_1 src1_sel:DWORD
	v_fma_f16 v27, v82, v29, -v30
	v_pack_b32_f16 v9, v9, v28
	v_fmac_f16_e32 v7, v82, v11
	v_mul_f16_sdwa v11, v81, v8 dst_sel:DWORD dst_unused:UNUSED_PAD src0_sel:WORD_1 src1_sel:DWORD
	v_fma_f16 v8, v81, v8, -v10
	s_waitcnt vmcnt(19)
	v_lshrrev_b32_e32 v10, 16, v16
	v_mul_f16_sdwa v28, v80, v16 dst_sel:DWORD dst_unused:UNUSED_PAD src0_sel:WORD_1 src1_sel:DWORD
	ds_write2_b32 v65, v6, v9 offset0:42 offset1:63
	v_pack_b32_f16 v6, v7, v27
	v_fmac_f16_e32 v11, v81, v15
	v_mul_f16_sdwa v7, v80, v10 dst_sel:DWORD dst_unused:UNUSED_PAD src0_sel:WORD_1 src1_sel:DWORD
	s_waitcnt vmcnt(18)
	v_lshrrev_b32_e32 v9, 16, v17
	v_mul_f16_sdwa v15, v79, v17 dst_sel:DWORD dst_unused:UNUSED_PAD src0_sel:WORD_1 src1_sel:DWORD
	v_fma_f16 v10, v80, v10, -v28
	v_pack_b32_f16 v8, v11, v8
	v_fmac_f16_e32 v7, v80, v16
	v_mul_f16_sdwa v11, v79, v9 dst_sel:DWORD dst_unused:UNUSED_PAD src0_sel:WORD_1 src1_sel:DWORD
	v_fma_f16 v9, v79, v9, -v15
	s_waitcnt vmcnt(15)
	v_lshrrev_b32_e32 v15, 16, v18
	v_mul_f16_sdwa v16, v78, v18 dst_sel:DWORD dst_unused:UNUSED_PAD src0_sel:WORD_1 src1_sel:DWORD
	ds_write2_b32 v65, v6, v8 offset0:84 offset1:105
	;; [unrolled: 15-line block ×3, first 2 shown]
	v_pack_b32_f16 v6, v7, v15
	v_fmac_f16_e32 v11, v77, v19
	v_mul_f16_sdwa v7, v76, v10 dst_sel:DWORD dst_unused:UNUSED_PAD src0_sel:WORD_1 src1_sel:DWORD
	s_waitcnt vmcnt(11)
	v_lshrrev_b32_e32 v9, 16, v21
	s_waitcnt vmcnt(10)
	v_mul_f16_sdwa v15, v75, v21 dst_sel:DWORD dst_unused:UNUSED_PAD src0_sel:WORD_1 src1_sel:DWORD
	v_fma_f16 v10, v76, v10, -v16
	v_pack_b32_f16 v8, v11, v8
	v_fmac_f16_e32 v7, v76, v20
	v_mul_f16_sdwa v11, v75, v9 dst_sel:DWORD dst_unused:UNUSED_PAD src0_sel:WORD_1 src1_sel:DWORD
	v_fma_f16 v9, v75, v9, -v15
	s_waitcnt vmcnt(7)
	v_lshrrev_b32_e32 v15, 16, v22
	v_mul_f16_sdwa v16, v74, v22 dst_sel:DWORD dst_unused:UNUSED_PAD src0_sel:WORD_1 src1_sel:DWORD
	ds_write2_b32 v65, v6, v8 offset0:168 offset1:189
	v_pack_b32_f16 v6, v7, v10
	v_fmac_f16_e32 v11, v75, v21
	s_waitcnt vmcnt(6)
	v_lshrrev_b32_e32 v7, 16, v23
	v_mul_f16_sdwa v8, v74, v15 dst_sel:DWORD dst_unused:UNUSED_PAD src0_sel:WORD_1 src1_sel:DWORD
	v_fma_f16 v10, v74, v15, -v16
	v_mul_f16_sdwa v15, v73, v23 dst_sel:DWORD dst_unused:UNUSED_PAD src0_sel:WORD_1 src1_sel:DWORD
	v_pack_b32_f16 v9, v11, v9
	v_mul_f16_sdwa v11, v73, v7 dst_sel:DWORD dst_unused:UNUSED_PAD src0_sel:WORD_1 src1_sel:DWORD
	s_waitcnt vmcnt(5)
	v_lshrrev_b32_e32 v16, 16, v24
	s_waitcnt vmcnt(3)
	v_lshrrev_b32_e32 v17, 16, v25
	v_fma_f16 v7, v73, v7, -v15
	v_mul_f16_sdwa v15, v72, v24 dst_sel:DWORD dst_unused:UNUSED_PAD src0_sel:WORD_1 src1_sel:DWORD
	s_waitcnt vmcnt(2)
	v_lshrrev_b32_e32 v19, 16, v26
	v_mul_f16_sdwa v18, v72, v16 dst_sel:DWORD dst_unused:UNUSED_PAD src0_sel:WORD_1 src1_sel:DWORD
	s_waitcnt vmcnt(1)
	v_mul_f16_sdwa v20, v71, v17 dst_sel:DWORD dst_unused:UNUSED_PAD src0_sel:WORD_1 src1_sel:DWORD
	v_fmac_f16_e32 v8, v74, v22
	v_fma_f16 v15, v72, v16, -v15
	v_mul_f16_sdwa v16, v71, v25 dst_sel:DWORD dst_unused:UNUSED_PAD src0_sel:WORD_1 src1_sel:DWORD
	s_waitcnt vmcnt(0)
	v_mul_f16_sdwa v21, v70, v26 dst_sel:DWORD dst_unused:UNUSED_PAD src0_sel:WORD_1 src1_sel:DWORD
	v_mul_f16_sdwa v22, v70, v19 dst_sel:DWORD dst_unused:UNUSED_PAD src0_sel:WORD_1 src1_sel:DWORD
	v_fmac_f16_e32 v11, v73, v23
	v_fmac_f16_e32 v18, v72, v24
	v_fma_f16 v16, v71, v17, -v16
	v_fmac_f16_e32 v20, v71, v25
	v_fma_f16 v17, v70, v19, -v21
	v_fmac_f16_e32 v22, v70, v26
	v_pack_b32_f16 v8, v8, v10
	v_pack_b32_f16 v7, v11, v7
	;; [unrolled: 1-line block ×5, first 2 shown]
	ds_write2_b32 v65, v6, v9 offset0:210 offset1:231
	ds_write2_b32 v4, v8, v7 offset0:124 offset1:145
	;; [unrolled: 1-line block ×3, first 2 shown]
	ds_write_b32 v65, v15 offset:1344
	s_and_saveexec_b32 s1, vcc_lo
	s_cbranch_execz .LBB0_3
; %bb.2:
	v_mad_u64_u32 v[6:7], null, s12, v69, 0
	v_mad_u64_u32 v[0:1], null, 0xfffffb04, s12, v[0:1]
	s_mul_i32 s0, s13, 0xfffffb04
	v_mad_u64_u32 v[10:11], null, s12, v67, 0
	s_sub_i32 s0, s0, s12
	v_mad_u64_u32 v[7:8], null, s13, v69, v[7:8]
	v_add_nc_u32_e32 v1, s0, v1
	v_add_co_u32 v15, s0, v0, s14
	v_mad_u64_u32 v[8:9], null, s12, v68, 0
	v_add_co_ci_u32_e64 v16, s0, s15, v1, s0
	v_lshlrev_b64 v[6:7], 2, v[6:7]
	v_add_co_u32 v17, s0, v15, s14
	v_add_co_ci_u32_e64 v18, s0, s15, v16, s0
	s_mul_i32 s3, s13, 0xa8
	v_add_co_u32 v6, s0, v2, v6
	v_add_co_ci_u32_e64 v7, s0, v3, v7, s0
	global_load_dword v19, v[0:1], off
	global_load_dword v20, v[15:16], off
	;; [unrolled: 1-line block ×4, first 2 shown]
	v_mad_u64_u32 v[6:7], null, s13, v68, v[9:10]
	s_mul_hi_u32 s18, s12, 0xa8
	s_mul_i32 s2, s12, 0xa8
	v_mad_u64_u32 v[15:16], null, s12, v66, 0
	s_add_i32 s18, s18, s3
	v_add_co_u32 v0, s0, v17, s2
	v_mov_b32_e32 v7, v11
	v_add_co_ci_u32_e64 v1, s0, s18, v18, s0
	v_add_co_u32 v17, s0, v0, s14
	v_mov_b32_e32 v9, v6
	v_mad_u64_u32 v[6:7], null, s13, v67, v[7:8]
	v_mov_b32_e32 v7, v16
	v_add_co_ci_u32_e64 v18, s0, s15, v1, s0
	global_load_dword v23, v[0:1], off
	global_load_dword v24, v[17:18], off
	v_lshlrev_b64 v[0:1], 2, v[8:9]
	v_mad_u64_u32 v[7:8], null, s13, v66, v[7:8]
	v_mov_b32_e32 v11, v6
	s_clause 0x5
	global_load_dword v25, v[12:13], off offset:68
	global_load_dword v26, v[12:13], off offset:152
	;; [unrolled: 1-line block ×6, first 2 shown]
	v_add_co_u32 v0, s0, v2, v0
	v_lshlrev_b64 v[8:9], 2, v[10:11]
	v_mov_b32_e32 v16, v7
	v_add_co_ci_u32_e64 v1, s0, v3, v1, s0
	v_lshlrev_b64 v[6:7], 2, v[15:16]
	v_add_co_u32 v8, s0, v2, v8
	v_add_co_ci_u32_e64 v9, s0, v3, v9, s0
	v_add_co_u32 v2, s0, v2, v6
	v_add_co_ci_u32_e64 v3, s0, v3, v7, s0
	global_load_dword v6, v[0:1], off
	global_load_dword v7, v[12:13], off offset:656
	global_load_dword v8, v[8:9], off
	global_load_dword v9, v[12:13], off offset:992
	global_load_dword v10, v[2:3], off
	global_load_dword v11, v[12:13], off offset:1328
	v_add_co_u32 v0, s0, v17, s14
	v_add_co_ci_u32_e64 v1, s0, s15, v18, s0
	global_load_dword v15, v[0:1], off
	global_load_dword v16, v[12:13], off offset:572
	v_add_co_u32 v0, s0, v0, s2
	v_add_co_ci_u32_e64 v1, s0, s18, v1, s0
	global_load_dword v17, v[0:1], off
	global_load_dword v18, v[12:13], off offset:740
	v_add_co_u32 v0, s0, v0, s14
	v_add_co_ci_u32_e64 v1, s0, s15, v1, s0
	global_load_dword v32, v[12:13], off offset:824
	global_load_dword v31, v[0:1], off
	v_add_co_u32 v0, s0, v0, s14
	v_add_co_ci_u32_e64 v1, s0, s15, v1, s0
	v_add_co_u32 v2, s0, v0, s2
	v_add_co_ci_u32_e64 v3, s0, s18, v1, s0
	global_load_dword v33, v[12:13], off offset:908
	global_load_dword v34, v[0:1], off
	global_load_dword v35, v[2:3], off
	v_add_co_u32 v0, s0, v2, s14
	v_add_co_ci_u32_e64 v1, s0, s15, v3, s0
	global_load_dword v36, v[12:13], off offset:1076
	v_add_co_u32 v2, s0, v0, s14
	v_add_co_ci_u32_e64 v3, s0, s15, v1, s0
	global_load_dword v37, v[0:1], off
	v_add_co_u32 v0, s0, v2, s2
	v_add_co_ci_u32_e64 v1, s0, s18, v3, s0
	global_load_dword v38, v[12:13], off offset:1160
	global_load_dword v2, v[2:3], off
	global_load_dword v0, v[0:1], off
	s_clause 0x1
	global_load_dword v1, v[12:13], off offset:1244
	global_load_dword v3, v[12:13], off offset:1412
	s_waitcnt vmcnt(33)
	v_lshrrev_b32_e32 v39, 16, v19
	s_waitcnt vmcnt(32)
	v_lshrrev_b32_e32 v42, 16, v20
	s_waitcnt vmcnt(26)
	v_mul_f16_sdwa v43, v26, v20 dst_sel:DWORD dst_unused:UNUSED_PAD src0_sel:WORD_1 src1_sel:DWORD
	v_mul_f16_sdwa v40, v25, v19 dst_sel:DWORD dst_unused:UNUSED_PAD src0_sel:WORD_1 src1_sel:DWORD
	;; [unrolled: 1-line block ×3, first 2 shown]
	v_fma_f16 v39, v25, v39, -v40
	v_fmac_f16_e32 v41, v25, v19
	v_mul_f16_sdwa v19, v26, v42 dst_sel:DWORD dst_unused:UNUSED_PAD src0_sel:WORD_1 src1_sel:DWORD
	v_lshrrev_b32_e32 v25, 16, v21
	v_fma_f16 v40, v26, v42, -v43
	s_waitcnt vmcnt(25)
	v_mul_f16_sdwa v42, v27, v21 dst_sel:DWORD dst_unused:UNUSED_PAD src0_sel:WORD_1 src1_sel:DWORD
	v_pack_b32_f16 v39, v41, v39
	v_fmac_f16_e32 v19, v26, v20
	v_mul_f16_sdwa v20, v27, v25 dst_sel:DWORD dst_unused:UNUSED_PAD src0_sel:WORD_1 src1_sel:DWORD
	v_lshrrev_b32_e32 v26, 16, v23
	s_waitcnt vmcnt(23)
	v_mul_f16_sdwa v41, v29, v23 dst_sel:DWORD dst_unused:UNUSED_PAD src0_sel:WORD_1 src1_sel:DWORD
	v_fma_f16 v25, v27, v25, -v42
	v_pack_b32_f16 v19, v19, v40
	v_fmac_f16_e32 v20, v27, v21
	v_mul_f16_sdwa v21, v29, v26 dst_sel:DWORD dst_unused:UNUSED_PAD src0_sel:WORD_1 src1_sel:DWORD
	v_lshrrev_b32_e32 v27, 16, v24
	v_fma_f16 v26, v29, v26, -v41
	s_waitcnt vmcnt(22)
	v_mul_f16_sdwa v40, v30, v24 dst_sel:DWORD dst_unused:UNUSED_PAD src0_sel:WORD_1 src1_sel:DWORD
	v_lshrrev_b32_e32 v41, 16, v22
	v_mul_f16_sdwa v42, v28, v22 dst_sel:DWORD dst_unused:UNUSED_PAD src0_sel:WORD_1 src1_sel:DWORD
	s_waitcnt vmcnt(21)
	v_lshrrev_b32_e32 v43, 16, v6
	s_waitcnt vmcnt(20)
	v_mul_f16_sdwa v44, v7, v6 dst_sel:DWORD dst_unused:UNUSED_PAD src0_sel:WORD_1 src1_sel:DWORD
	s_waitcnt vmcnt(19)
	v_lshrrev_b32_e32 v45, 16, v8
	s_waitcnt vmcnt(17)
	v_lshrrev_b32_e32 v48, 16, v10
	v_fmac_f16_e32 v21, v29, v23
	ds_write2_b32 v65, v39, v19 offset0:17 offset1:38
	v_pack_b32_f16 v19, v20, v25
	v_mul_f16_sdwa v20, v30, v27 dst_sel:DWORD dst_unused:UNUSED_PAD src0_sel:WORD_1 src1_sel:DWORD
	s_waitcnt vmcnt(15)
	v_lshrrev_b32_e32 v25, 16, v15
	v_mul_f16_sdwa v46, v9, v8 dst_sel:DWORD dst_unused:UNUSED_PAD src0_sel:WORD_1 src1_sel:DWORD
	v_fma_f16 v23, v30, v27, -v40
	s_waitcnt vmcnt(14)
	v_mul_f16_sdwa v27, v16, v15 dst_sel:DWORD dst_unused:UNUSED_PAD src0_sel:WORD_1 src1_sel:DWORD
	v_mul_f16_sdwa v29, v28, v41 dst_sel:DWORD dst_unused:UNUSED_PAD src0_sel:WORD_1 src1_sel:DWORD
	v_fma_f16 v39, v28, v41, -v42
	v_mul_f16_sdwa v40, v7, v43 dst_sel:DWORD dst_unused:UNUSED_PAD src0_sel:WORD_1 src1_sel:DWORD
	v_fma_f16 v41, v7, v43, -v44
	v_mul_f16_sdwa v42, v9, v45 dst_sel:DWORD dst_unused:UNUSED_PAD src0_sel:WORD_1 src1_sel:DWORD
	v_mul_f16_sdwa v44, v11, v48 dst_sel:DWORD dst_unused:UNUSED_PAD src0_sel:WORD_1 src1_sel:DWORD
	v_pack_b32_f16 v21, v21, v26
	s_waitcnt vmcnt(13)
	v_lshrrev_b32_e32 v26, 16, v17
	v_fmac_f16_e32 v20, v30, v24
	v_mul_f16_sdwa v24, v16, v25 dst_sel:DWORD dst_unused:UNUSED_PAD src0_sel:WORD_1 src1_sel:DWORD
	v_mul_f16_sdwa v50, v11, v10 dst_sel:DWORD dst_unused:UNUSED_PAD src0_sel:WORD_1 src1_sel:DWORD
	v_fma_f16 v43, v9, v45, -v46
	v_fma_f16 v25, v16, v25, -v27
	s_waitcnt vmcnt(12)
	v_mul_f16_sdwa v27, v18, v17 dst_sel:DWORD dst_unused:UNUSED_PAD src0_sel:WORD_1 src1_sel:DWORD
	v_fmac_f16_e32 v29, v28, v22
	v_fmac_f16_e32 v40, v7, v6
	;; [unrolled: 1-line block ×4, first 2 shown]
	v_mul_f16_sdwa v7, v18, v26 dst_sel:DWORD dst_unused:UNUSED_PAD src0_sel:WORD_1 src1_sel:DWORD
	s_waitcnt vmcnt(10)
	v_lshrrev_b32_e32 v9, 16, v31
	v_mul_f16_sdwa v10, v32, v31 dst_sel:DWORD dst_unused:UNUSED_PAD src0_sel:WORD_1 src1_sel:DWORD
	v_pack_b32_f16 v6, v20, v23
	v_fmac_f16_e32 v24, v16, v15
	v_fma_f16 v45, v11, v48, -v50
	v_fma_f16 v8, v18, v26, -v27
	v_pack_b32_f16 v11, v29, v39
	v_fmac_f16_e32 v7, v18, v17
	v_mul_f16_sdwa v17, v32, v9 dst_sel:DWORD dst_unused:UNUSED_PAD src0_sel:WORD_1 src1_sel:DWORD
	v_fma_f16 v9, v32, v9, -v10
	s_waitcnt vmcnt(8)
	v_lshrrev_b32_e32 v10, 16, v34
	v_pack_b32_f16 v15, v40, v41
	ds_write2_b32 v65, v21, v6 offset0:101 offset1:122
	v_pack_b32_f16 v6, v24, v25
	v_mul_f16_sdwa v18, v33, v34 dst_sel:DWORD dst_unused:UNUSED_PAD src0_sel:WORD_1 src1_sel:DWORD
	ds_write2_b32 v65, v19, v11 offset0:59 offset1:80
	ds_write2_b32 v65, v6, v15 offset0:143 offset1:164
	v_pack_b32_f16 v6, v7, v8
	v_mul_f16_sdwa v7, v33, v10 dst_sel:DWORD dst_unused:UNUSED_PAD src0_sel:WORD_1 src1_sel:DWORD
	s_waitcnt vmcnt(7)
	v_lshrrev_b32_e32 v8, 16, v35
	s_waitcnt vmcnt(6)
	v_mul_f16_sdwa v11, v36, v35 dst_sel:DWORD dst_unused:UNUSED_PAD src0_sel:WORD_1 src1_sel:DWORD
	v_fmac_f16_e32 v17, v32, v31
	v_fma_f16 v10, v33, v10, -v18
	v_fmac_f16_e32 v7, v33, v34
	v_mul_f16_sdwa v15, v36, v8 dst_sel:DWORD dst_unused:UNUSED_PAD src0_sel:WORD_1 src1_sel:DWORD
	v_fma_f16 v8, v36, v8, -v11
	s_waitcnt vmcnt(5)
	v_lshrrev_b32_e32 v11, 16, v37
	v_pack_b32_f16 v9, v17, v9
	s_waitcnt vmcnt(4)
	v_mul_f16_sdwa v17, v38, v37 dst_sel:DWORD dst_unused:UNUSED_PAD src0_sel:WORD_1 src1_sel:DWORD
	v_pack_b32_f16 v7, v7, v10
	s_waitcnt vmcnt(3)
	v_lshrrev_b32_e32 v10, 16, v2
	s_waitcnt vmcnt(2)
	v_lshrrev_b32_e32 v18, 16, v0
	v_mul_f16_sdwa v19, v38, v11 dst_sel:DWORD dst_unused:UNUSED_PAD src0_sel:WORD_1 src1_sel:DWORD
	v_fma_f16 v11, v38, v11, -v17
	s_waitcnt vmcnt(1)
	v_mul_f16_sdwa v17, v1, v2 dst_sel:DWORD dst_unused:UNUSED_PAD src0_sel:WORD_1 src1_sel:DWORD
	v_mul_f16_sdwa v20, v1, v10 dst_sel:DWORD dst_unused:UNUSED_PAD src0_sel:WORD_1 src1_sel:DWORD
	s_waitcnt vmcnt(0)
	v_mul_f16_sdwa v21, v3, v18 dst_sel:DWORD dst_unused:UNUSED_PAD src0_sel:WORD_1 src1_sel:DWORD
	v_mul_f16_sdwa v22, v3, v0 dst_sel:DWORD dst_unused:UNUSED_PAD src0_sel:WORD_1 src1_sel:DWORD
	v_fmac_f16_e32 v15, v36, v35
	v_fmac_f16_e32 v19, v38, v37
	v_fma_f16 v10, v1, v10, -v17
	v_fmac_f16_e32 v20, v1, v2
	v_fmac_f16_e32 v21, v3, v0
	v_fma_f16 v0, v3, v18, -v22
	v_pack_b32_f16 v16, v42, v43
	v_pack_b32_f16 v1, v15, v8
	;; [unrolled: 1-line block ×6, first 2 shown]
	ds_write2_b32 v65, v6, v9 offset0:185 offset1:206
	ds_write2_b32 v65, v7, v16 offset0:227 offset1:248
	;; [unrolled: 1-line block ×4, first 2 shown]
	ds_write_b32 v65, v0 offset:1412
.LBB0_3:
	s_or_b32 exec_lo, exec_lo, s1
	s_waitcnt lgkmcnt(0)
	s_barrier
	buffer_gl0_inv
	ds_read2_b32 v[27:28], v65 offset1:21
	ds_read2_b32 v[31:32], v65 offset0:42 offset1:63
	ds_read2_b32 v[35:36], v65 offset0:84 offset1:105
	;; [unrolled: 1-line block ×7, first 2 shown]
	ds_read_b32 v124, v65 offset:1344
	s_load_dwordx2 s[0:1], s[4:5], 0x8
	v_mov_b32_e32 v0, 0
                                        ; implicit-def: $vgpr9
                                        ; implicit-def: $vgpr6
                                        ; implicit-def: $vgpr11
                                        ; implicit-def: $vgpr4
                                        ; implicit-def: $vgpr26
                                        ; implicit-def: $vgpr2
                                        ; implicit-def: $vgpr24
                                        ; implicit-def: $vgpr44
	s_and_saveexec_b32 s2, vcc_lo
	s_cbranch_execz .LBB0_5
; %bb.4:
	v_add_nc_u32_e32 v2, 0x400, v65
	ds_read2_b32 v[0:1], v65 offset0:17 offset1:38
	ds_read2_b32 v[23:24], v65 offset0:59 offset1:80
	;; [unrolled: 1-line block ×8, first 2 shown]
	ds_read_b32 v44, v65 offset:1412
.LBB0_5:
	s_or_b32 exec_lo, exec_lo, s2
	s_waitcnt lgkmcnt(0)
	v_pk_add_f16 v99, v1, v44 neg_lo:[0,1] neg_hi:[0,1]
	v_mov_b32_e32 v46, 0xb5c8
	v_mov_b32_e32 v129, 0xb964
	v_pk_add_f16 v54, v44, v1
	v_pk_add_f16 v101, v23, v3 neg_lo:[0,1] neg_hi:[0,1]
	v_mov_b32_e32 v131, 0xbb29
	v_mul_f16_sdwa v45, v99, v46 dst_sel:DWORD dst_unused:UNUSED_PAD src0_sel:WORD_1 src1_sel:DWORD
	v_mul_f16_sdwa v50, v99, v129 dst_sel:DWORD dst_unused:UNUSED_PAD src0_sel:WORD_1 src1_sel:DWORD
	v_mov_b32_e32 v97, 0xbbf7
	v_pk_add_f16 v57, v3, v23
	v_mul_f16_sdwa v48, v101, v129 dst_sel:DWORD dst_unused:UNUSED_PAD src0_sel:WORD_1 src1_sel:DWORD
	v_fmamk_f16 v15, v54, 0x3b76, v45
	v_pk_add_f16 v100, v24, v2 neg_lo:[0,1] neg_hi:[0,1]
	v_fmamk_f16 v16, v54, 0x39e9, v50
	v_mul_f16_sdwa v52, v101, v97 dst_sel:DWORD dst_unused:UNUSED_PAD src0_sel:WORD_1 src1_sel:DWORD
	v_mov_b32_e32 v130, 0xba62
	v_fmamk_f16 v17, v57, 0x39e9, v48
	v_pk_add_f16 v58, v2, v24
	v_mul_f16_sdwa v51, v100, v131 dst_sel:DWORD dst_unused:UNUSED_PAD src0_sel:WORD_1 src1_sel:DWORD
	v_pk_add_f16 v98, v25, v5 neg_lo:[0,1] neg_hi:[0,1]
	v_add_f16_e32 v15, v15, v0
	v_mov_b32_e32 v43, 0xbbb2
	v_fmamk_f16 v18, v57, 0x2de8, v52
	v_mov_b32_e32 v90, 0xb1e1
	v_mul_f16_sdwa v53, v100, v130 dst_sel:DWORD dst_unused:UNUSED_PAD src0_sel:WORD_1 src1_sel:DWORD
	v_fmamk_f16 v19, v58, 0x3722, v51
	v_pk_add_f16 v59, v5, v25
	v_pk_add_f16 v96, v26, v4 neg_lo:[0,1] neg_hi:[0,1]
	v_mul_f16_sdwa v55, v98, v97 dst_sel:DWORD dst_unused:UNUSED_PAD src0_sel:WORD_1 src1_sel:DWORD
	v_add_f16_e32 v16, v16, v0
	v_add_f16_e32 v15, v17, v15
	v_mov_b32_e32 v137, 0x3836
	v_fmamk_f16 v20, v58, 0xb8d2, v53
	v_mul_f16_sdwa v56, v98, v90 dst_sel:DWORD dst_unused:UNUSED_PAD src0_sel:WORD_1 src1_sel:DWORD
	v_pk_add_f16 v94, v4, v26
	v_mul_f16_sdwa v60, v96, v43 dst_sel:DWORD dst_unused:UNUSED_PAD src0_sel:WORD_1 src1_sel:DWORD
	v_fmamk_f16 v21, v59, 0x2de8, v55
	v_add_f16_e32 v16, v18, v16
	v_pk_add_f16 v103, v10, v7 neg_lo:[0,1] neg_hi:[0,1]
	v_add_f16_e32 v15, v19, v15
	v_mov_b32_e32 v104, 0xb836
	v_mov_b32_e32 v136, 0x3bb2
	v_fmamk_f16 v17, v59, 0xbbdd, v56
	v_fmamk_f16 v22, v94, 0xb461, v60
	v_mul_f16_sdwa v62, v96, v137 dst_sel:DWORD dst_unused:UNUSED_PAD src0_sel:WORD_1 src1_sel:DWORD
	v_pk_add_f16 v95, v7, v10
	v_add_f16_e32 v16, v20, v16
	v_mul_f16_sdwa v61, v103, v130 dst_sel:DWORD dst_unused:UNUSED_PAD src0_sel:WORD_1 src1_sel:DWORD
	v_add_f16_e32 v15, v21, v15
	v_pk_add_f16 v102, v11, v6 neg_lo:[0,1] neg_hi:[0,1]
	v_fmamk_f16 v18, v94, 0xbacd, v62
	v_mul_f16_sdwa v64, v103, v136 dst_sel:DWORD dst_unused:UNUSED_PAD src0_sel:WORD_1 src1_sel:DWORD
	v_add_f16_e32 v16, v17, v16
	v_fmamk_f16 v17, v95, 0xb8d2, v61
	v_add_f16_e32 v15, v22, v15
	v_pk_add_f16 v109, v6, v11
	v_mul_f16_sdwa v63, v102, v104 dst_sel:DWORD dst_unused:UNUSED_PAD src0_sel:WORD_1 src1_sel:DWORD
	v_mov_b32_e32 v125, 0x3b29
	v_fmamk_f16 v19, v95, 0xb461, v64
	v_add_f16_e32 v16, v18, v16
	v_add_f16_e32 v15, v17, v15
	v_fmamk_f16 v17, v109, 0xbacd, v63
	v_mul_f16_sdwa v91, v102, v125 dst_sel:DWORD dst_unused:UNUSED_PAD src0_sel:WORD_1 src1_sel:DWORD
	v_pk_add_f16 v105, v8, v9 neg_lo:[0,1] neg_hi:[0,1]
	v_add_f16_e32 v16, v19, v16
	v_pk_add_f16 v110, v9, v8
	v_add_f16_e32 v15, v17, v15
	v_fmamk_f16 v17, v109, 0x3722, v91
	v_mul_f16_sdwa v93, v105, v90 dst_sel:DWORD dst_unused:UNUSED_PAD src0_sel:WORD_1 src1_sel:DWORD
	v_mov_b32_e32 v142, 0x35c8
	v_mul_f16_sdwa v111, v99, v131 dst_sel:DWORD dst_unused:UNUSED_PAD src0_sel:WORD_1 src1_sel:DWORD
	v_mul_f16_sdwa v112, v101, v130 dst_sel:DWORD dst_unused:UNUSED_PAD src0_sel:WORD_1 src1_sel:DWORD
	v_add_f16_e32 v17, v17, v16
	v_fmamk_f16 v16, v110, 0xbbdd, v93
	v_mul_f16_sdwa v92, v105, v142 dst_sel:DWORD dst_unused:UNUSED_PAD src0_sel:WORD_1 src1_sel:DWORD
	v_mul_f16_sdwa v19, v101, v90 dst_sel:DWORD dst_unused:UNUSED_PAD src0_sel:WORD_1 src1_sel:DWORD
	v_fmamk_f16 v18, v57, 0xb8d2, v112
	v_mov_b32_e32 v143, 0x31e1
	v_add_f16_e32 v16, v16, v15
	v_fmamk_f16 v15, v110, 0x3b76, v92
	v_fma_f16 v128, v57, 0xbbdd, -v19
	v_fmac_f16_e32 v19, 0xbbdd, v57
	v_mul_f16_sdwa v115, v100, v143 dst_sel:DWORD dst_unused:UNUSED_PAD src0_sel:WORD_1 src1_sel:DWORD
	v_mul_f16_sdwa v114, v98, v136 dst_sel:DWORD dst_unused:UNUSED_PAD src0_sel:WORD_1 src1_sel:DWORD
	v_add_f16_e32 v15, v15, v17
	v_fmamk_f16 v17, v54, 0x3722, v111
	v_mov_b32_e32 v106, 0x3964
	v_mul_f16_sdwa v116, v103, v46 dst_sel:DWORD dst_unused:UNUSED_PAD src0_sel:WORD_1 src1_sel:DWORD
	v_mul_f16_sdwa v118, v102, v97 dst_sel:DWORD dst_unused:UNUSED_PAD src0_sel:WORD_1 src1_sel:DWORD
	v_mov_b32_e32 v123, 0x3a62
	v_add_f16_e32 v17, v17, v0
	v_mul_f16_sdwa v117, v96, v106 dst_sel:DWORD dst_unused:UNUSED_PAD src0_sel:WORD_1 src1_sel:DWORD
	v_mul_f16_sdwa v20, v105, v106 dst_sel:DWORD dst_unused:UNUSED_PAD src0_sel:WORD_1 src1_sel:DWORD
	;; [unrolled: 1-line block ×4, first 2 shown]
	v_add_f16_e32 v17, v18, v17
	v_mul_f16_sdwa v18, v99, v97 dst_sel:DWORD dst_unused:UNUSED_PAD src0_sel:WORD_1 src1_sel:DWORD
	v_fma_f16 v119, v110, 0x39e9, -v20
	v_fmac_f16_e32 v20, 0x39e9, v110
	v_mul_f16_sdwa v22, v101, v137 dst_sel:DWORD dst_unused:UNUSED_PAD src0_sel:WORD_1 src1_sel:DWORD
	v_mul_f16_sdwa v89, v99, v130 dst_sel:DWORD dst_unused:UNUSED_PAD src0_sel:WORD_1 src1_sel:DWORD
	v_fma_f16 v127, v54, 0x2de8, -v18
	v_fmac_f16_e32 v18, 0x2de8, v54
	v_mul_f16_sdwa v120, v101, v136 dst_sel:DWORD dst_unused:UNUSED_PAD src0_sel:WORD_1 src1_sel:DWORD
	v_mov_b32_e32 v141, 0x3bf7
	v_pk_add_f16 v167, v35, v38 neg_lo:[0,1] neg_hi:[0,1]
	v_pk_add_f16 v166, v36, v37 neg_lo:[0,1] neg_hi:[0,1]
	v_add_f16_e32 v18, v18, v0
	v_fma_f16 v132, v57, 0xb461, -v120
	v_fmac_f16_e32 v120, 0xb461, v57
	v_pk_add_f16 v171, v28, v124 neg_lo:[0,1] neg_hi:[0,1]
	v_pk_add_f16 v174, v124, v28
	v_add_f16_e32 v18, v19, v18
	v_fmamk_f16 v19, v58, 0xbbdd, v115
	v_pk_add_f16 v169, v31, v34 neg_lo:[0,1] neg_hi:[0,1]
	v_mul_f16_sdwa v172, v171, v46 dst_sel:DWORD dst_unused:UNUSED_PAD src0_sel:WORD_1 src1_sel:DWORD
	v_pk_add_f16 v168, v32, v33 neg_lo:[0,1] neg_hi:[0,1]
	v_lshrrev_b32_e32 v182, 16, v174
	v_add_f16_e32 v17, v19, v17
	v_mul_f16_sdwa v19, v100, v136 dst_sel:DWORD dst_unused:UNUSED_PAD src0_sel:WORD_1 src1_sel:DWORD
	v_mul_f16_e32 v184, 0xb964, v171
	v_mul_f16_e32 v150, 0xba62, v168
	;; [unrolled: 1-line block ×4, first 2 shown]
	v_fma_f16 v126, v58, 0xb461, -v19
	v_fmac_f16_e32 v19, 0xb461, v58
	v_mul_f16_sdwa v205, v171, v131 dst_sel:DWORD dst_unused:UNUSED_PAD src0_sel:WORD_1 src1_sel:DWORD
	s_barrier
	buffer_gl0_inv
	v_add_f16_e32 v18, v19, v18
	v_fmamk_f16 v19, v59, 0xb461, v114
	v_mul_f16_e32 v213, 0xbb29, v171
	v_mul_f16_sdwa v208, v171, v97 dst_sel:DWORD dst_unused:UNUSED_PAD src0_sel:WORD_1 src1_sel:DWORD
	v_mul_f16_sdwa v190, v169, v90 dst_sel:DWORD dst_unused:UNUSED_PAD src0_sel:WORD_1 src1_sel:DWORD
	v_mul_f16_e32 v216, 0xbbf7, v171
	v_add_f16_e32 v17, v19, v17
	v_mul_f16_sdwa v19, v98, v142 dst_sel:DWORD dst_unused:UNUSED_PAD src0_sel:WORD_1 src1_sel:DWORD
	v_mul_f16_e32 v191, 0xb1e1, v169
	v_mul_f16_sdwa v143, v168, v143 dst_sel:DWORD dst_unused:UNUSED_PAD src0_sel:WORD_1 src1_sel:DWORD
	v_mul_f16_sdwa v192, v168, v136 dst_sel:DWORD dst_unused:UNUSED_PAD src0_sel:WORD_1 src1_sel:DWORD
	v_mul_f16_e32 v193, 0x3bb2, v168
	v_fma_f16 v122, v59, 0x3b76, -v19
	v_fmac_f16_e32 v19, 0x3b76, v59
	v_mul_f16_sdwa v194, v167, v142 dst_sel:DWORD dst_unused:UNUSED_PAD src0_sel:WORD_1 src1_sel:DWORD
	v_mul_f16_e32 v195, 0x35c8, v167
	v_mul_f16_sdwa v196, v166, v131 dst_sel:DWORD dst_unused:UNUSED_PAD src0_sel:WORD_1 src1_sel:DWORD
	v_mul_f16_e32 v197, 0xbb29, v166
	v_add_f16_e32 v18, v19, v18
	v_fmamk_f16 v19, v94, 0x39e9, v117
	v_mul_f16_sdwa v217, v171, v43 dst_sel:DWORD dst_unused:UNUSED_PAD src0_sel:WORD_1 src1_sel:DWORD
	v_mul_f16_sdwa v137, v169, v137 dst_sel:DWORD dst_unused:UNUSED_PAD src0_sel:WORD_1 src1_sel:DWORD
	v_mul_f16_e32 v218, 0xbbb2, v171
	v_mul_f16_sdwa v220, v171, v130 dst_sel:DWORD dst_unused:UNUSED_PAD src0_sel:WORD_1 src1_sel:DWORD
	v_add_f16_e32 v17, v19, v17
	v_mul_f16_sdwa v19, v96, v131 dst_sel:DWORD dst_unused:UNUSED_PAD src0_sel:WORD_1 src1_sel:DWORD
	v_mul_f16_sdwa v219, v169, v136 dst_sel:DWORD dst_unused:UNUSED_PAD src0_sel:WORD_1 src1_sel:DWORD
	v_mul_f16_e32 v221, 0xba62, v171
	v_mul_f16_e32 v222, 0x3bb2, v169
	v_mul_f16_sdwa v223, v168, v46 dst_sel:DWORD dst_unused:UNUSED_PAD src0_sel:WORD_1 src1_sel:DWORD
	v_fma_f16 v121, v94, 0x3722, -v19
	v_fmac_f16_e32 v19, 0x3722, v94
	v_mul_f16_e32 v224, 0xb5c8, v168
	v_mul_f16_sdwa v225, v167, v104 dst_sel:DWORD dst_unused:UNUSED_PAD src0_sel:WORD_1 src1_sel:DWORD
	v_mul_f16_e32 v226, 0xb836, v167
	v_mul_f16_e32 v239, 0x3b29, v169
	v_add_f16_e32 v18, v19, v18
	v_fmamk_f16 v19, v95, 0x3b76, v116
	v_add_f16_e32 v127, v127, v0
	v_add_f16_e32 v17, v19, v17
	v_mul_f16_sdwa v19, v103, v104 dst_sel:DWORD dst_unused:UNUSED_PAD src0_sel:WORD_1 src1_sel:DWORD
	v_fma_f16 v108, v95, 0xbacd, -v19
	v_fmac_f16_e32 v19, 0xbacd, v95
	v_add_f16_e32 v18, v19, v18
	v_fmamk_f16 v19, v109, 0x2de8, v118
	v_add_f16_e32 v17, v19, v17
	v_mul_f16_sdwa v19, v102, v123 dst_sel:DWORD dst_unused:UNUSED_PAD src0_sel:WORD_1 src1_sel:DWORD
	v_fma_f16 v107, v109, 0xb8d2, -v19
	v_fmac_f16_e32 v19, 0xb8d2, v109
	v_add_f16_e32 v19, v19, v18
	v_fmamk_f16 v18, v110, 0xbacd, v113
	v_add_f16_e32 v18, v18, v17
	v_add_f16_e32 v17, v20, v19
	v_fma_f16 v19, v54, 0xb461, -v21
	v_fma_f16 v20, v57, 0xbacd, -v22
	v_fmac_f16_e32 v21, 0xb461, v54
	v_fmac_f16_e32 v22, 0xbacd, v57
	v_add_f16_e32 v19, v19, v0
	v_add_f16_e32 v21, v21, v0
	v_add_f16_e32 v19, v20, v19
	v_fma_f16 v20, v54, 0xb8d2, -v89
	v_fmac_f16_e32 v89, 0xb8d2, v54
	v_add_f16_e32 v21, v22, v21
	v_add_f16_e32 v20, v20, v0
	v_add_f16_e32 v22, v89, v0
	v_add_f16_e32 v20, v132, v20
	v_mul_f16_sdwa v132, v100, v106 dst_sel:DWORD dst_unused:UNUSED_PAD src0_sel:WORD_1 src1_sel:DWORD
	v_add_f16_e32 v22, v120, v22
	v_pk_add_f16 v120, v40, v41
	v_fma_f16 v133, v58, 0x39e9, -v132
	v_fmac_f16_e32 v132, 0x39e9, v58
	v_lshrrev_b32_e32 v158, 16, v120
	v_add_f16_e32 v19, v133, v19
	v_mul_f16_sdwa v133, v100, v46 dst_sel:DWORD dst_unused:UNUSED_PAD src0_sel:WORD_1 src1_sel:DWORD
	v_add_f16_e32 v21, v132, v21
	v_fma_f16 v134, v58, 0x3b76, -v133
	v_fmac_f16_e32 v133, 0x3b76, v58
	v_add_f16_e32 v20, v134, v20
	v_mul_f16_sdwa v134, v98, v131 dst_sel:DWORD dst_unused:UNUSED_PAD src0_sel:WORD_1 src1_sel:DWORD
	v_add_f16_e32 v22, v133, v22
	v_fma_f16 v135, v59, 0x3722, -v134
	v_fmac_f16_e32 v134, 0x3722, v59
	;; [unrolled: 5-line block ×5, first 2 shown]
	v_add_f16_e32 v20, v140, v20
	v_mul_f16_sdwa v140, v103, v141 dst_sel:DWORD dst_unused:UNUSED_PAD src0_sel:WORD_1 src1_sel:DWORD
	v_add_f16_e32 v22, v139, v22
	v_pk_add_f16 v139, v42, v39 neg_lo:[0,1] neg_hi:[0,1]
	v_fma_f16 v144, v95, 0x2de8, -v140
	v_fmac_f16_e32 v140, 0x2de8, v95
	v_mul_f16_e32 v161, 0x3b29, v139
	v_mul_f16_e32 v201, 0x3a62, v139
	v_add_f16_e32 v19, v144, v19
	v_mul_f16_sdwa v144, v103, v129 dst_sel:DWORD dst_unused:UNUSED_PAD src0_sel:WORD_1 src1_sel:DWORD
	v_add_f16_e32 v21, v140, v21
	v_pk_add_f16 v140, v41, v40 neg_lo:[0,1] neg_hi:[0,1]
	v_fma_f16 v145, v95, 0x39e9, -v144
	v_fmac_f16_e32 v144, 0x39e9, v95
	v_mul_f16_e32 v159, 0x3bb2, v140
	v_mul_f16_e32 v199, 0xb836, v140
	;; [unrolled: 1-line block ×3, first 2 shown]
	v_add_f16_e32 v20, v145, v20
	v_mul_f16_sdwa v145, v102, v46 dst_sel:DWORD dst_unused:UNUSED_PAD src0_sel:WORD_1 src1_sel:DWORD
	v_add_f16_e32 v22, v144, v22
	v_mul_f16_sdwa v231, v140, v129 dst_sel:DWORD dst_unused:UNUSED_PAD src0_sel:WORD_1 src1_sel:DWORD
	v_fma_f16 v146, v109, 0x3b76, -v145
	v_fmac_f16_e32 v145, 0x3b76, v109
	v_add_f16_e32 v19, v146, v19
	v_mul_f16_sdwa v146, v102, v90 dst_sel:DWORD dst_unused:UNUSED_PAD src0_sel:WORD_1 src1_sel:DWORD
	v_add_f16_e32 v21, v145, v21
	v_fma_f16 v147, v109, 0xbbdd, -v146
	v_fmac_f16_e32 v146, 0xbbdd, v109
	v_add_f16_e32 v20, v147, v20
	v_mul_f16_sdwa v147, v105, v130 dst_sel:DWORD dst_unused:UNUSED_PAD src0_sel:WORD_1 src1_sel:DWORD
	v_add_f16_e32 v89, v146, v22
	v_mul_f16_e32 v146, 0xbbf7, v169
	v_fma_f16 v148, v110, 0xb8d2, -v147
	v_fmac_f16_e32 v147, 0xb8d2, v110
	v_add_f16_e32 v19, v148, v19
	v_mul_f16_sdwa v148, v105, v125 dst_sel:DWORD dst_unused:UNUSED_PAD src0_sel:WORD_1 src1_sel:DWORD
	v_add_f16_e32 v22, v147, v21
	v_fma_f16 v149, v110, 0x3722, -v148
	v_fmac_f16_e32 v148, 0x3722, v110
	v_add_f16_e32 v20, v149, v20
	v_add_f16_e32 v21, v148, v89
	v_pk_add_f16 v89, v27, v28
	v_fma_f16 v28, v174, 0x3b76, -v172
	v_fmac_f16_e32 v172, 0x3b76, v174
	v_pk_add_f16 v89, v89, v31
	v_pk_add_f16 v89, v89, v32
	v_pk_add_f16 v89, v89, v35
	v_pk_add_f16 v89, v89, v36
	v_pk_add_f16 v89, v89, v41
	v_pk_add_f16 v41, v39, v42
	v_pk_add_f16 v89, v89, v42
	v_lshrrev_b32_e32 v160, 16, v41
	v_pk_add_f16 v42, v89, v29
	v_pk_add_f16 v42, v42, v30
	;; [unrolled: 1-line block ×7, first 2 shown]
	v_pk_mul_f16 v132, 0x2de8bbdd, v39
	v_lshrrev_b32_e32 v152, 16, v39
	v_lshrrev_b32_e32 v156, 16, v35
	v_fma_f16 v142, v39, 0x3b76, -v194
	v_pk_add_f16 v37, v36, v38
	v_pk_add_f16 v36, v34, v31
	;; [unrolled: 1-line block ×3, first 2 shown]
	v_pk_fma_f16 v148, 0xb1e1bbf7, v167, v132 op_sel:[0,0,1] op_sel_hi:[1,1,0]
	v_fmac_f16_e32 v194, 0x3b76, v39
	v_pk_add_f16 v32, v37, v33
	v_lshrrev_b32_e32 v145, 16, v36
	v_lshrrev_b32_e32 v149, 16, v31
	v_fma_f16 v181, v36, 0xbbdd, -v190
	v_fmac_f16_e32 v190, 0xbbdd, v36
	v_pk_add_f16 v177, v32, v34
	v_add_f16_e32 v32, v27, v28
	v_mul_f16_sdwa v28, v169, v129 dst_sel:DWORD dst_unused:UNUSED_PAD src0_sel:WORD_1 src1_sel:DWORD
	v_pk_mul_f16 v34, 0x39e92de8, v36
	v_fmamk_f16 v183, v145, 0xbbdd, v191
	v_fma_f16 v129, v120, 0x39e9, -v231
	v_fmamk_f16 v240, v145, 0x3722, v239
	v_fma_f16 v33, v36, 0x39e9, -v28
	v_pk_fma_f16 v144, 0xbbf7b964, v169, v34 op_sel:[0,0,1] op_sel_hi:[1,1,0]
	v_pk_add_f16 v124, v177, v124
	v_fmac_f16_e32 v231, 0x39e9, v120
	v_fmac_f16_e32 v28, 0x39e9, v36
	v_add_f16_e32 v33, v33, v32
	v_pk_mul_f16 v32, 0x3b7639e9, v174
	v_pk_fma_f16 v173, 0xb964b5c8, v171, v32 op_sel:[0,0,1] op_sel_hi:[1,1,0] neg_lo:[0,1,0] neg_hi:[0,1,0]
	v_pk_fma_f16 v175, 0xb964b5c8, v171, v32 op_sel:[0,0,1] op_sel_hi:[1,1,0]
	v_pk_fma_f16 v32, 0xbbf7b964, v169, v34 op_sel:[0,0,1] op_sel_hi:[1,1,0] neg_lo:[0,1,0] neg_hi:[0,1,0]
	v_bfi_b32 v34, 0xffff, v175, v173
	v_bfi_b32 v37, 0xffff, v144, v32
	v_pk_add_f16 v34, v27, v34 op_sel:[1,0] op_sel_hi:[0,1]
	v_pk_add_f16 v38, v37, v34
	v_fmamk_f16 v34, v182, 0x39e9, v184
	v_fmamk_f16 v37, v145, 0x2de8, v146
	v_add_f16_sdwa v34, v27, v34 dst_sel:DWORD dst_unused:UNUSED_PAD src0_sel:WORD_1 src1_sel:DWORD
	v_add_f16_e32 v40, v37, v34
	v_mul_f16_sdwa v34, v168, v131 dst_sel:DWORD dst_unused:UNUSED_PAD src0_sel:WORD_1 src1_sel:DWORD
	v_mul_f16_sdwa v131, v167, v131 dst_sel:DWORD dst_unused:UNUSED_PAD src0_sel:WORD_1 src1_sel:DWORD
	v_fma_f16 v37, v31, 0x3722, -v34
	v_fmac_f16_e32 v34, 0x3722, v31
	v_add_f16_e32 v42, v37, v33
	v_pk_mul_f16 v33, 0x3722b8d2, v31
	v_pk_fma_f16 v37, 0xba62bb29, v168, v33 op_sel:[0,0,1] op_sel_hi:[1,1,0] neg_lo:[0,1,0] neg_hi:[0,1,0]
	v_pk_fma_f16 v147, 0xba62bb29, v168, v33 op_sel:[0,0,1] op_sel_hi:[1,1,0]
	v_bfi_b32 v33, 0xffff, v147, v37
	v_pk_add_f16 v89, v33, v38
	v_fmamk_f16 v33, v149, 0xb8d2, v150
	v_add_f16_e32 v40, v33, v40
	v_mul_f16_sdwa v33, v167, v97 dst_sel:DWORD dst_unused:UNUSED_PAD src0_sel:WORD_1 src1_sel:DWORD
	v_fma_f16 v38, v39, 0x2de8, -v33
	v_fmac_f16_e32 v33, 0x2de8, v39
	v_add_f16_e32 v42, v38, v42
	v_pk_fma_f16 v38, 0xb1e1bbf7, v167, v132 op_sel:[0,0,1] op_sel_hi:[1,1,0] neg_lo:[0,1,0] neg_hi:[0,1,0]
	v_bfi_b32 v132, 0xffff, v148, v38
	v_pk_add_f16 v89, v132, v89
	v_fmamk_f16 v132, v152, 0xbbdd, v153
	v_add_f16_e32 v133, v132, v40
	v_mul_f16_sdwa v40, v166, v43 dst_sel:DWORD dst_unused:UNUSED_PAD src0_sel:WORD_1 src1_sel:DWORD
	v_fma_f16 v132, v35, 0xb461, -v40
	v_fmac_f16_e32 v40, 0xb461, v35
	v_add_f16_e32 v134, v132, v42
	v_pk_mul_f16 v42, 0xb461bacd, v35
	v_pk_fma_f16 v132, 0x3836bbb2, v166, v42 op_sel:[0,0,1] op_sel_hi:[1,1,0] neg_lo:[0,1,0] neg_hi:[0,1,0]
	v_pk_fma_f16 v151, 0x3836bbb2, v166, v42 op_sel:[0,0,1] op_sel_hi:[1,1,0]
	v_bfi_b32 v42, 0xffff, v151, v132
	v_pk_add_f16 v89, v42, v89
	v_fmamk_f16 v42, v156, 0xbacd, v157
	v_add_f16_e32 v135, v42, v133
	v_mul_f16_sdwa v42, v140, v130 dst_sel:DWORD dst_unused:UNUSED_PAD src0_sel:WORD_1 src1_sel:DWORD
	v_fma_f16 v133, v120, 0xb8d2, -v42
	v_fmac_f16_e32 v42, 0xb8d2, v120
	v_add_f16_e32 v138, v133, v134
	v_pk_mul_f16 v134, 0xb8d2b461, v120
	v_pk_fma_f16 v133, 0x3bb2ba62, v140, v134 op_sel:[0,0,1] op_sel_hi:[1,1,0] neg_lo:[0,1,0] neg_hi:[0,1,0]
	v_pk_fma_f16 v154, 0x3bb2ba62, v140, v134 op_sel:[0,0,1] op_sel_hi:[1,1,0]
	;; [unrolled: 11-line block ×3, first 2 shown]
	v_bfi_b32 v138, 0xffff, v155, v135
	v_pk_add_f16 v89, v138, v89
	v_fmamk_f16 v138, v160, 0x3722, v161
	v_add_f16_e32 v176, v138, v162
	v_pk_add_f16 v138, v30, v29
	v_pk_add_f16 v162, v29, v30 neg_lo:[0,1] neg_hi:[0,1]
	v_pk_mul_f16 v165, 0xbbdd3b76, v138
	v_lshrrev_b32_e32 v163, 16, v138
	v_mul_f16_e32 v164, 0x35c8, v162
	v_pk_fma_f16 v29, 0x35c8b1e1, v162, v165 op_sel:[0,0,1] op_sel_hi:[1,1,0] neg_lo:[0,1,0] neg_hi:[0,1,0]
	v_pk_fma_f16 v30, 0x35c8b1e1, v162, v165 op_sel:[0,0,1] op_sel_hi:[1,1,0]
	v_bfi_b32 v30, 0xffff, v30, v29
	v_pk_add_f16 v89, v30, v89
	v_fmamk_f16 v30, v163, 0x3b76, v164
	v_add_f16_e32 v176, v30, v176
	v_mul_f16_sdwa v30, v162, v90 dst_sel:DWORD dst_unused:UNUSED_PAD src0_sel:WORD_1 src1_sel:DWORD
	v_alignbit_b32 v176, v176, v89, 16
	v_fma_f16 v178, v138, 0xbbdd, -v30
	v_fmac_f16_e32 v30, 0xbbdd, v138
	v_add_f16_e32 v170, v178, v170
	v_pack_b32_f16 v170, v170, v89
	v_mul_lo_u16 v89, v84, 17
	v_and_b32_e32 v89, 0xffff, v89
	v_lshl_add_u32 v89, v89, 2, v88
	ds_write2_b32 v89, v170, v176 offset0:1 offset1:2
	v_fma_f16 v170, v174, 0x3722, -v205
	v_fmac_f16_e32 v205, 0x3722, v174
	v_add_f16_e32 v176, v27, v170
	v_mul_f16_sdwa v170, v169, v130 dst_sel:DWORD dst_unused:UNUSED_PAD src0_sel:WORD_1 src1_sel:DWORD
	v_mul_f16_sdwa v130, v162, v130 dst_sel:DWORD dst_unused:UNUSED_PAD src0_sel:WORD_1 src1_sel:DWORD
	v_fma_f16 v178, v36, 0xb8d2, -v170
	v_fmac_f16_e32 v170, 0xb8d2, v36
	v_add_f16_e32 v178, v178, v176
	v_fmamk_f16 v176, v182, 0x3722, v213
	v_add_f16_sdwa v179, v27, v176 dst_sel:DWORD dst_unused:UNUSED_PAD src0_sel:WORD_1 src1_sel:DWORD
	v_mul_f16_e32 v176, 0xba62, v169
	v_fmamk_f16 v180, v145, 0xb8d2, v176
	v_add_f16_e32 v179, v180, v179
	v_fma_f16 v180, v174, 0x2de8, -v208
	v_fmac_f16_e32 v208, 0x2de8, v174
	v_add_f16_e32 v180, v27, v180
	v_add_f16_e32 v180, v181, v180
	v_fmamk_f16 v181, v182, 0x2de8, v216
	v_add_f16_sdwa v181, v27, v181 dst_sel:DWORD dst_unused:UNUSED_PAD src0_sel:WORD_1 src1_sel:DWORD
	v_add_f16_e32 v183, v183, v181
	v_fma_f16 v181, v31, 0xbbdd, -v143
	v_fmac_f16_e32 v143, 0xbbdd, v31
	v_add_f16_e32 v185, v181, v178
	v_mul_f16_e32 v181, 0x31e1, v168
	v_fmamk_f16 v178, v149, 0xbbdd, v181
	v_add_f16_e32 v179, v178, v179
	v_fma_f16 v178, v31, 0xb461, -v192
	v_fmac_f16_e32 v192, 0xb461, v31
	v_add_f16_e32 v180, v178, v180
	v_fmamk_f16 v178, v149, 0xb461, v193
	v_add_f16_e32 v142, v142, v180
	v_add_f16_e32 v186, v178, v183
	v_mul_f16_sdwa v178, v167, v136 dst_sel:DWORD dst_unused:UNUSED_PAD src0_sel:WORD_1 src1_sel:DWORD
	v_fma_f16 v136, v174, 0xb8d2, -v220
	v_fmac_f16_e32 v220, 0xb8d2, v174
	v_fma_f16 v183, v39, 0xb461, -v178
	v_add_f16_e32 v136, v27, v136
	v_fmac_f16_e32 v178, 0xb461, v39
	v_add_f16_e32 v185, v183, v185
	v_mul_f16_e32 v183, 0x3bb2, v167
	v_fmamk_f16 v187, v152, 0xb461, v183
	v_add_f16_e32 v187, v187, v179
	v_fmamk_f16 v179, v152, 0x3b76, v195
	v_add_f16_e32 v180, v179, v186
	v_mul_f16_sdwa v179, v166, v106 dst_sel:DWORD dst_unused:UNUSED_PAD src0_sel:WORD_1 src1_sel:DWORD
	v_fma_f16 v186, v35, 0x39e9, -v179
	v_fmac_f16_e32 v179, 0x39e9, v35
	v_add_f16_e32 v185, v186, v185
	v_mul_f16_e32 v186, 0x3964, v166
	v_fmamk_f16 v188, v156, 0x39e9, v186
	v_add_f16_e32 v188, v188, v187
	v_fma_f16 v187, v35, 0x3722, -v196
	v_fmac_f16_e32 v196, 0x3722, v35
	v_add_f16_e32 v189, v187, v142
	v_fmamk_f16 v142, v156, 0x3722, v197
	v_add_f16_e32 v180, v142, v180
	v_mul_f16_sdwa v142, v140, v46 dst_sel:DWORD dst_unused:UNUSED_PAD src0_sel:WORD_1 src1_sel:DWORD
	v_fma_f16 v187, v120, 0x3b76, -v142
	v_fmac_f16_e32 v142, 0x3b76, v120
	v_add_f16_e32 v185, v187, v185
	v_mul_f16_e32 v187, 0xb5c8, v140
	v_fmamk_f16 v198, v158, 0x3b76, v187
	v_add_f16_e32 v200, v198, v188
	v_mul_f16_sdwa v198, v140, v104 dst_sel:DWORD dst_unused:UNUSED_PAD src0_sel:WORD_1 src1_sel:DWORD
	v_fma_f16 v188, v120, 0xbacd, -v198
	v_fmac_f16_e32 v198, 0xbacd, v120
	v_add_f16_e32 v189, v188, v189
	v_fmamk_f16 v188, v158, 0xbacd, v199
	v_add_f16_e32 v202, v188, v180
	v_mul_f16_sdwa v180, v139, v97 dst_sel:DWORD dst_unused:UNUSED_PAD src0_sel:WORD_1 src1_sel:DWORD
	v_fma_f16 v188, v41, 0x2de8, -v180
	v_fmac_f16_e32 v180, 0x2de8, v41
	v_add_f16_e32 v203, v188, v185
	v_mul_f16_e32 v188, 0xbbf7, v139
	v_fmamk_f16 v185, v160, 0x2de8, v188
	v_add_f16_e32 v204, v185, v200
	v_mul_f16_sdwa v200, v139, v123 dst_sel:DWORD dst_unused:UNUSED_PAD src0_sel:WORD_1 src1_sel:DWORD
	v_fma_f16 v185, v41, 0xb8d2, -v200
	v_fmac_f16_e32 v200, 0xb8d2, v41
	v_add_f16_e32 v189, v185, v189
	v_fmamk_f16 v185, v160, 0xb8d2, v201
	v_add_f16_e32 v206, v185, v202
	v_mul_f16_sdwa v185, v162, v104 dst_sel:DWORD dst_unused:UNUSED_PAD src0_sel:WORD_1 src1_sel:DWORD
	v_fma_f16 v202, v138, 0xbacd, -v185
	v_fmac_f16_e32 v185, 0xbacd, v138
	v_add_f16_e32 v207, v202, v203
	v_mul_f16_sdwa v202, v162, v106 dst_sel:DWORD dst_unused:UNUSED_PAD src0_sel:WORD_1 src1_sel:DWORD
	v_fma_f16 v203, v138, 0x39e9, -v202
	v_fmac_f16_e32 v202, 0x39e9, v138
	v_add_f16_e32 v209, v203, v189
	v_mul_f16_e32 v203, 0x3964, v162
	v_fmamk_f16 v189, v163, 0x39e9, v203
	v_add_f16_e32 v206, v189, v206
	v_mul_f16_e32 v189, 0xbacd, v163
	v_pack_b32_f16 v206, v209, v206
	v_fmamk_f16 v210, v162, 0xb836, v189
	v_add_f16_e32 v204, v210, v204
	v_fmamk_f16 v210, v145, 0xb461, v222
	v_pack_b32_f16 v204, v207, v204
	ds_write2_b32 v89, v204, v206 offset0:3 offset1:4
	v_fma_f16 v204, v174, 0xb461, -v217
	v_fma_f16 v206, v36, 0xbacd, -v137
	v_fmac_f16_e32 v217, 0xb461, v174
	v_fmac_f16_e32 v137, 0xbacd, v36
	v_add_f16_e32 v204, v27, v204
	v_add_f16_e32 v206, v206, v204
	v_fmamk_f16 v204, v182, 0xb461, v218
	v_add_f16_sdwa v207, v27, v204 dst_sel:DWORD dst_unused:UNUSED_PAD src0_sel:WORD_1 src1_sel:DWORD
	v_mul_f16_e32 v204, 0x3836, v169
	v_fmamk_f16 v209, v145, 0xbacd, v204
	v_add_f16_e32 v207, v209, v207
	v_fma_f16 v209, v36, 0xb461, -v219
	v_fmac_f16_e32 v219, 0xb461, v36
	v_add_f16_e32 v209, v209, v136
	v_fmamk_f16 v136, v182, 0xb8d2, v221
	v_add_f16_sdwa v136, v27, v136 dst_sel:DWORD dst_unused:UNUSED_PAD src0_sel:WORD_1 src1_sel:DWORD
	v_add_f16_e32 v210, v210, v136
	v_mul_f16_sdwa v136, v168, v106 dst_sel:DWORD dst_unused:UNUSED_PAD src0_sel:WORD_1 src1_sel:DWORD
	v_fma_f16 v211, v31, 0x39e9, -v136
	v_fmac_f16_e32 v136, 0x39e9, v31
	v_add_f16_e32 v211, v211, v206
	v_mul_f16_e32 v206, 0x3964, v168
	v_fmamk_f16 v212, v149, 0x39e9, v206
	v_add_f16_e32 v212, v212, v207
	v_fma_f16 v207, v31, 0x3b76, -v223
	v_fmac_f16_e32 v223, 0x3b76, v31
	v_add_f16_e32 v209, v207, v209
	v_fmamk_f16 v207, v149, 0x3b76, v224
	v_add_f16_e32 v210, v207, v210
	v_fma_f16 v207, v39, 0x3722, -v131
	v_fmac_f16_e32 v131, 0x3722, v39
	v_add_f16_e32 v211, v207, v211
	v_mul_f16_e32 v207, 0xbb29, v167
	v_fmamk_f16 v214, v152, 0x3722, v207
	v_add_f16_e32 v212, v214, v212
	v_fma_f16 v214, v39, 0xbacd, -v225
	v_fmac_f16_e32 v225, 0xbacd, v39
	v_add_f16_e32 v214, v214, v209
	v_fmamk_f16 v209, v152, 0xbacd, v226
	v_add_f16_e32 v215, v209, v210
	v_mul_f16_sdwa v209, v166, v90 dst_sel:DWORD dst_unused:UNUSED_PAD src0_sel:WORD_1 src1_sel:DWORD
	v_fma_f16 v210, v35, 0xbbdd, -v209
	v_fmac_f16_e32 v209, 0xbbdd, v35
	v_add_f16_e32 v211, v210, v211
	v_mul_f16_e32 v210, 0xb1e1, v166
	v_fmamk_f16 v227, v156, 0xbbdd, v210
	v_add_f16_e32 v212, v227, v212
	v_mul_f16_sdwa v227, v166, v141 dst_sel:DWORD dst_unused:UNUSED_PAD src0_sel:WORD_1 src1_sel:DWORD
	v_mul_f16_sdwa v141, v140, v141 dst_sel:DWORD dst_unused:UNUSED_PAD src0_sel:WORD_1 src1_sel:DWORD
	v_fma_f16 v228, v35, 0x2de8, -v227
	v_fmac_f16_e32 v227, 0x2de8, v35
	v_add_f16_e32 v214, v228, v214
	v_mul_f16_e32 v228, 0x3bf7, v166
	v_add_f16_e32 v129, v129, v214
	v_fmamk_f16 v229, v156, 0x2de8, v228
	v_add_f16_e32 v215, v229, v215
	v_fma_f16 v229, v120, 0x2de8, -v141
	v_fmac_f16_e32 v141, 0x2de8, v120
	v_add_f16_e32 v229, v229, v211
	v_mul_f16_e32 v211, 0x3bf7, v140
	v_fmamk_f16 v230, v158, 0x2de8, v211
	v_add_f16_e32 v230, v230, v212
	v_fmamk_f16 v212, v158, 0x39e9, v232
	v_add_f16_e32 v215, v212, v215
	v_mul_f16_sdwa v212, v139, v46 dst_sel:DWORD dst_unused:UNUSED_PAD src0_sel:WORD_1 src1_sel:DWORD
	v_fma_f16 v214, v41, 0x3b76, -v212
	v_fmac_f16_e32 v212, 0x3b76, v41
	v_add_f16_e32 v229, v214, v229
	v_mul_f16_e32 v214, 0xb5c8, v139
	v_fmamk_f16 v233, v160, 0x3b76, v214
	v_add_f16_e32 v230, v233, v230
	v_mul_f16_sdwa v233, v139, v90 dst_sel:DWORD dst_unused:UNUSED_PAD src0_sel:WORD_1 src1_sel:DWORD
	v_fma_f16 v234, v41, 0xbbdd, -v233
	v_fmac_f16_e32 v233, 0xbbdd, v41
	v_add_f16_e32 v129, v234, v129
	v_mul_f16_e32 v234, 0xb1e1, v139
	v_fmamk_f16 v235, v160, 0xbbdd, v234
	v_add_f16_e32 v215, v235, v215
	v_fma_f16 v235, v138, 0xb8d2, -v130
	v_fmac_f16_e32 v130, 0xb8d2, v138
	v_add_f16_e32 v229, v235, v229
	v_mul_f16_sdwa v235, v162, v125 dst_sel:DWORD dst_unused:UNUSED_PAD src0_sel:WORD_1 src1_sel:DWORD
	v_fma_f16 v236, v138, 0x3722, -v235
	v_fmac_f16_e32 v235, 0x3722, v138
	v_add_f16_e32 v129, v236, v129
	v_mul_f16_e32 v236, 0x3b29, v162
	v_fmamk_f16 v237, v163, 0x3722, v236
	v_add_f16_e32 v237, v237, v215
	v_mul_f16_e32 v215, 0xba62, v162
	v_pack_b32_f16 v129, v129, v237
	v_fmamk_f16 v238, v163, 0xb8d2, v215
	v_add_f16_e32 v230, v238, v230
	v_pack_b32_f16 v229, v229, v230
	v_mul_f16_sdwa v230, v169, v125 dst_sel:DWORD dst_unused:UNUSED_PAD src0_sel:WORD_1 src1_sel:DWORD
	v_mul_f16_sdwa v125, v101, v125 dst_sel:DWORD dst_unused:UNUSED_PAD src0_sel:WORD_1 src1_sel:DWORD
	ds_write2_b32 v89, v229, v129 offset0:5 offset1:6
	v_mul_f16_sdwa v129, v171, v104 dst_sel:DWORD dst_unused:UNUSED_PAD src0_sel:WORD_1 src1_sel:DWORD
	v_fma_f16 v237, v36, 0x3722, -v230
	v_fmac_f16_e32 v230, 0x3722, v36
	v_mul_f16_sdwa v104, v99, v104 dst_sel:DWORD dst_unused:UNUSED_PAD src0_sel:WORD_1 src1_sel:DWORD
	v_fma_f16 v229, v174, 0xbacd, -v129
	v_fmac_f16_e32 v129, 0xbacd, v174
	v_add_f16_e32 v229, v27, v229
	v_add_f16_e32 v229, v237, v229
	v_mul_f16_e32 v237, 0xb836, v171
	v_fmamk_f16 v238, v182, 0xbacd, v237
	v_add_f16_sdwa v238, v27, v238 dst_sel:DWORD dst_unused:UNUSED_PAD src0_sel:WORD_1 src1_sel:DWORD
	v_add_f16_e32 v238, v240, v238
	v_mul_f16_sdwa v240, v168, v97 dst_sel:DWORD dst_unused:UNUSED_PAD src0_sel:WORD_1 src1_sel:DWORD
	v_mul_f16_sdwa v97, v100, v97 dst_sel:DWORD dst_unused:UNUSED_PAD src0_sel:WORD_1 src1_sel:DWORD
	v_fma_f16 v241, v31, 0x2de8, -v240
	v_fmac_f16_e32 v240, 0x2de8, v31
	v_add_f16_e32 v229, v241, v229
	v_mul_f16_e32 v241, 0xbbf7, v168
	v_fmamk_f16 v242, v149, 0x2de8, v241
	v_add_f16_e32 v238, v242, v238
	v_mul_f16_sdwa v242, v167, v123 dst_sel:DWORD dst_unused:UNUSED_PAD src0_sel:WORD_1 src1_sel:DWORD
	v_fma_f16 v243, v39, 0xb8d2, -v242
	v_fmac_f16_e32 v242, 0xb8d2, v39
	v_add_f16_e32 v229, v243, v229
	v_mul_f16_e32 v243, 0x3a62, v167
	v_fmamk_f16 v244, v152, 0xb8d2, v243
	v_add_f16_e32 v238, v244, v238
	v_mul_f16_sdwa v244, v166, v46 dst_sel:DWORD dst_unused:UNUSED_PAD src0_sel:WORD_1 src1_sel:DWORD
	v_mul_f16_sdwa v46, v96, v46 dst_sel:DWORD dst_unused:UNUSED_PAD src0_sel:WORD_1 src1_sel:DWORD
	v_fma_f16 v245, v35, 0x3b76, -v244
	v_fmac_f16_e32 v244, 0x3b76, v35
	v_add_f16_e32 v229, v245, v229
	v_mul_f16_e32 v245, 0xb5c8, v166
	v_fmamk_f16 v246, v156, 0x3b76, v245
	v_add_f16_e32 v238, v246, v238
	v_mul_f16_sdwa v246, v140, v90 dst_sel:DWORD dst_unused:UNUSED_PAD src0_sel:WORD_1 src1_sel:DWORD
	;; [unrolled: 8-line block ×4, first 2 shown]
	v_fma_f16 v251, v138, 0xb461, -v250
	v_fmac_f16_e32 v250, 0xb461, v138
	v_add_f16_e32 v229, v251, v229
	v_mul_f16_e32 v251, 0xbbb2, v162
	v_fmamk_f16 v252, v163, 0xb461, v251
	v_add_f16_e32 v238, v252, v238
	v_pack_b32_f16 v177, v229, v238
	ds_write2_b32 v89, v124, v177 offset1:7
	v_pk_mul_f16 v124, 0xbbdd, v174 op_sel_hi:[0,1]
	v_fma_f16 v177, v182, 0x39e9, -v184
	v_fma_f16 v184, v182, 0x3722, -v213
	;; [unrolled: 1-line block ×6, first 2 shown]
	v_pk_fma_f16 v174, 0xb1e1, v171, v124 op_sel:[0,0,1] op_sel_hi:[0,1,0] neg_lo:[0,1,0] neg_hi:[0,1,0]
	v_pk_fma_f16 v171, 0xb1e1, v171, v124 op_sel:[0,0,1] op_sel_hi:[0,1,0]
	v_add_f16_e32 v124, v27, v172
	v_pk_add_f16 v172, v27, v175 op_sel:[1,0] op_sel_hi:[0,1]
	v_add_f16_sdwa v175, v27, v177 dst_sel:DWORD dst_unused:UNUSED_PAD src0_sel:WORD_1 src1_sel:DWORD
	v_add_f16_e32 v177, v27, v205
	v_add_f16_sdwa v184, v27, v184 dst_sel:DWORD dst_unused:UNUSED_PAD src0_sel:WORD_1 src1_sel:DWORD
	v_add_f16_e32 v205, v27, v208
	;; [unrolled: 2-line block ×5, first 2 shown]
	v_add_f16_sdwa v182, v27, v182 dst_sel:DWORD dst_unused:UNUSED_PAD src0_sel:WORD_1 src1_sel:DWORD
	v_add_f16_sdwa v129, v27, v173 dst_sel:DWORD dst_unused:UNUSED_PAD src0_sel:WORD_1 src1_sel:DWORD
	v_pk_add_f16 v173, v27, v174 op_sel:[1,0] op_sel_hi:[0,1]
	v_pk_add_f16 v27, v27, v171 op_sel:[1,0] op_sel_hi:[0,1]
	v_pk_mul_f16 v171, 0x3b76, v36 op_sel_hi:[0,1]
	v_add_f16_e32 v137, v137, v213
	v_add_f16_e32 v28, v28, v124
	v_pk_mul_f16 v36, 0xb461b8d2, v94
	v_pk_fma_f16 v174, 0x35c8, v169, v171 op_sel:[0,0,1] op_sel_hi:[0,1,0] neg_lo:[0,1,0] neg_hi:[0,1,0]
	v_pk_fma_f16 v169, 0x35c8, v169, v171 op_sel:[0,0,1] op_sel_hi:[0,1,0]
	v_add_f16_e32 v136, v136, v137
	v_fma_f16 v137, v149, 0x39e9, -v206
	v_add_f16_e32 v34, v34, v28
	v_pk_add_f16 v171, v174, v173
	v_pk_add_f16 v27, v169, v27
	v_pk_mul_f16 v169, 0xbacd, v31 op_sel_hi:[0,1]
	v_add_f16_e32 v131, v131, v136
	v_fma_f16 v136, v152, 0x3722, -v207
	v_add_f16_e32 v31, v32, v129
	v_pk_mul_f16 v28, 0xb8d23722, v95
	v_pk_fma_f16 v173, 0xb836, v168, v169 op_sel:[0,0,1] op_sel_hi:[0,1,0] neg_lo:[0,1,0] neg_hi:[0,1,0]
	v_pk_fma_f16 v168, 0xb836, v168, v169 op_sel:[0,0,1] op_sel_hi:[0,1,0]
	v_add_f16_e32 v131, v209, v131
	v_add_f16_e32 v31, v37, v31
	;; [unrolled: 1-line block ×3, first 2 shown]
	v_pk_add_f16 v169, v173, v171
	v_pk_add_f16 v27, v168, v27
	v_pk_mul_f16 v168, 0x39e9, v39 op_sel_hi:[0,1]
	v_add_f16_e32 v131, v141, v131
	v_mul_f16_e32 v34, 0xbbb2, v105
	v_add_f16_e32 v31, v38, v31
	v_add_f16_e32 v33, v40, v33
	v_pk_fma_f16 v171, 0x3964, v167, v168 op_sel:[0,0,1] op_sel_hi:[0,1,0] neg_lo:[0,1,0] neg_hi:[0,1,0]
	v_pk_fma_f16 v167, 0x3964, v167, v168 op_sel:[0,0,1] op_sel_hi:[0,1,0]
	v_add_f16_e32 v131, v212, v131
	v_add_f16_e32 v33, v42, v33
	v_pk_add_f16 v168, v171, v169
	v_pk_add_f16 v27, v167, v27
	v_pk_mul_f16 v167, 0xb8d2, v35 op_sel_hi:[0,1]
	v_add_f16_e32 v130, v130, v131
	v_fma_f16 v131, v163, 0xb8d2, -v215
	v_pk_fma_f16 v169, 0xba62, v166, v167 op_sel:[0,0,1] op_sel_hi:[0,1,0] neg_lo:[0,1,0] neg_hi:[0,1,0]
	v_pk_fma_f16 v166, 0xba62, v166, v167 op_sel:[0,0,1] op_sel_hi:[0,1,0]
	v_pk_add_f16 v167, v169, v168
	v_pk_add_f16 v27, v166, v27
	v_pk_mul_f16 v166, 0x3722, v120 op_sel_hi:[0,1]
	v_pk_fma_f16 v168, 0x3b29, v140, v166 op_sel:[0,0,1] op_sel_hi:[0,1,0] neg_lo:[0,1,0] neg_hi:[0,1,0]
	v_pk_fma_f16 v140, 0x3b29, v140, v166 op_sel:[0,0,1] op_sel_hi:[0,1,0]
	v_pk_add_f16 v166, v168, v167
	v_pk_add_f16 v27, v140, v27
	v_pk_mul_f16 v140, 0xb461, v41 op_sel_hi:[0,1]
	;; [unrolled: 5-line block ×3, first 2 shown]
	v_fma_f16 v167, v149, 0x3b76, -v224
	v_pk_fma_f16 v166, 0x3bf7, v162, v139 op_sel:[0,0,1] op_sel_hi:[0,1,0] neg_lo:[0,1,0] neg_hi:[0,1,0]
	v_pk_fma_f16 v139, 0x3bf7, v162, v139 op_sel:[0,0,1] op_sel_hi:[0,1,0]
	v_pk_add_f16 v140, v166, v140
	v_pk_add_f16 v27, v139, v27
	v_fma_f16 v166, v145, 0x3722, -v239
	v_alignbit_b32 v139, v140, v27, 16
	v_alignbit_b32 v27, v27, v140, 16
	v_add_f16_e32 v166, v166, v182
	v_add_f16_e32 v140, v230, v220
	ds_write2_b32 v89, v27, v139 offset0:8 offset1:9
	v_fma_f16 v139, v145, 0xb461, -v222
	v_add_f16_e32 v27, v219, v217
	v_add_f16_e32 v140, v240, v140
	;; [unrolled: 1-line block ×6, first 2 shown]
	v_fma_f16 v167, v149, 0x2de8, -v241
	v_add_f16_e32 v27, v225, v27
	v_add_f16_e32 v140, v244, v140
	v_add_f16_e32 v166, v167, v166
	v_fma_f16 v167, v152, 0xbacd, -v226
	v_add_f16_e32 v27, v227, v27
	v_add_f16_e32 v140, v246, v140
	v_add_f16_e32 v139, v167, v139
	;; [unrolled: 4-line block ×4, first 2 shown]
	v_fma_f16 v167, v156, 0x3b76, -v245
	v_add_f16_e32 v27, v235, v27
	v_add_f16_e32 v166, v167, v166
	v_fma_f16 v167, v158, 0x39e9, -v232
	v_add_f16_e32 v139, v167, v139
	v_fma_f16 v167, v158, 0xbbdd, -v247
	;; [unrolled: 2-line block ×6, first 2 shown]
	v_pack_b32_f16 v27, v27, v139
	v_add_f16_e32 v166, v167, v166
	v_pack_b32_f16 v139, v140, v166
	v_fma_f16 v140, v145, 0xbacd, -v204
	v_fma_f16 v166, v149, 0xb461, -v193
	ds_write2_b32 v89, v139, v27 offset0:10 offset1:11
	v_fma_f16 v139, v145, 0xbbdd, -v191
	v_add_f16_e32 v140, v140, v216
	v_add_f16_e32 v27, v190, v205
	v_add_f16_e32 v139, v139, v208
	v_add_f16_e32 v137, v137, v140
	v_fma_f16 v140, v152, 0x3b76, -v195
	v_add_f16_e32 v27, v192, v27
	v_add_f16_e32 v139, v166, v139
	;; [unrolled: 1-line block ×3, first 2 shown]
	v_fma_f16 v137, v156, 0x3722, -v197
	v_add_f16_e32 v27, v194, v27
	v_add_f16_e32 v139, v140, v139
	v_pk_mul_f16 v140, 0x35c8b1e1, v162
	v_add_f16_e32 v27, v196, v27
	v_add_f16_e32 v137, v137, v139
	v_fma_f16 v139, v156, 0xbbdd, -v210
	v_add_f16_e32 v27, v198, v27
	v_add_f16_e32 v136, v139, v136
	v_fma_f16 v139, v158, 0xbacd, -v199
	;; [unrolled: 3-line block ×4, first 2 shown]
	v_add_f16_e32 v137, v139, v137
	v_fma_f16 v139, v160, 0x3b76, -v214
	v_add_f16_e32 v136, v139, v136
	v_fma_f16 v139, v163, 0x39e9, -v203
	v_add_f16_e32 v131, v131, v136
	v_add_f16_e32 v137, v139, v137
	v_fma_f16 v136, v149, 0xb8d2, -v150
	v_add_f16_e32 v139, v170, v177
	v_pack_b32_f16 v130, v130, v131
	v_pack_b32_f16 v27, v27, v137
	v_fma_f16 v137, v149, 0xbbdd, -v181
	v_pk_add_f16 v131, v144, v172
	v_add_f16_e32 v139, v143, v139
	v_add_f16_e32 v143, v128, v127
	ds_write2_b32 v89, v130, v27 offset0:12 offset1:13
	v_fma_f16 v130, v145, 0xb8d2, -v176
	v_fma_f16 v27, v145, 0x2de8, -v146
	v_pk_add_f16 v131, v147, v131
	v_add_f16_e32 v139, v178, v139
	v_mul_f16_e32 v127, 0xbbf7, v99
	v_add_f16_e32 v130, v130, v184
	v_add_f16_e32 v27, v27, v175
	v_pk_add_f16 v131, v148, v131
	v_add_f16_e32 v139, v179, v139
	v_add_f16_e32 v130, v137, v130
	v_fma_f16 v137, v152, 0xb461, -v183
	v_add_f16_e32 v27, v136, v27
	v_fma_f16 v136, v152, 0xbbdd, -v153
	v_pk_add_f16 v131, v151, v131
	v_add_f16_e32 v139, v142, v139
	v_add_f16_e32 v130, v137, v130
	v_fma_f16 v137, v156, 0x39e9, -v186
	v_add_f16_e32 v27, v136, v27
	v_fma_f16 v136, v156, 0xbacd, -v157
	v_pk_add_f16 v131, v154, v131
	v_mul_f16_e32 v154, 0xb1e1, v99
	v_add_f16_e32 v130, v137, v130
	v_fma_f16 v137, v158, 0x3b76, -v187
	v_add_f16_e32 v27, v136, v27
	v_fma_f16 v136, v158, 0xb461, -v159
	v_add_f16_e32 v157, v126, v143
	v_mul_f16_e32 v126, 0x3bb2, v100
	v_add_f16_e32 v130, v137, v130
	v_fma_f16 v137, v160, 0x3722, -v161
	v_add_f16_e32 v27, v136, v27
	v_fma_f16 v136, v160, 0x2de8, -v188
	v_mul_f16_e32 v161, 0x3964, v98
	v_bfi_b32 v130, 0xffff, v130, v140
	v_mul_f16_e32 v140, 0xb836, v162
	v_add_f16_e32 v27, v137, v27
	v_pack_b32_f16 v136, v136, v165
	v_fma_f16 v137, v163, 0x3b76, -v164
	v_mul_f16_e32 v163, 0xba62, v96
	v_bfi_b32 v140, 0xffff, v140, v131
	v_pk_add_f16 v131, v155, v131
	v_pk_add_f16 v130, v136, v130
	v_add_f16_e32 v136, v180, v139
	v_add_f16_e32 v27, v137, v27
	v_pk_add_f16 v140, v189, v140 neg_lo:[0,1] neg_hi:[0,1]
	v_lshrrev_b32_e32 v139, 16, v54
	v_lshrrev_b32_e32 v137, 16, v57
	v_bfi_b32 v131, 0xffff, v140, v131
	v_fmamk_f16 v128, v139, 0x2de8, v127
	v_fma_f16 v127, v139, 0x2de8, -v127
	v_pk_add_f16 v130, v131, v130
	v_add_f16_e32 v131, v185, v136
	v_add_f16_sdwa v128, v128, v0 dst_sel:DWORD dst_unused:UNUSED_PAD src0_sel:DWORD src1_sel:WORD_1
	v_add_f16_sdwa v127, v127, v0 dst_sel:DWORD dst_unused:UNUSED_PAD src0_sel:DWORD src1_sel:WORD_1
	v_alignbit_b32 v27, v27, v130, 16
	v_pack_b32_f16 v130, v131, v130
	ds_write2_b32 v89, v130, v27 offset0:14 offset1:15
	v_mul_f16_e32 v130, 0xb964, v99
	v_fma_f16 v27, v139, 0x39e9, -v130
	v_add_f16_sdwa v131, v27, v0 dst_sel:DWORD dst_unused:UNUSED_PAD src0_sel:DWORD src1_sel:WORD_1
	v_mul_f16_e32 v27, 0xbbf7, v101
	v_fma_f16 v136, v137, 0x2de8, -v27
	v_add_f16_e32 v140, v136, v131
	v_mul_f16_e32 v131, 0xbb29, v99
	v_fma_f16 v136, v139, 0x3722, -v131
	v_add_f16_sdwa v141, v136, v0 dst_sel:DWORD dst_unused:UNUSED_PAD src0_sel:DWORD src1_sel:WORD_1
	v_mul_f16_e32 v136, 0xba62, v101
	v_fma_f16 v142, v137, 0xb8d2, -v136
	v_add_f16_e32 v142, v142, v141
	v_mul_f16_e32 v141, 0xb1e1, v101
	v_fmamk_f16 v144, v137, 0xbbdd, v141
	v_add_f16_e32 v144, v144, v128
	v_fma_f16 v128, v137, 0xbbdd, -v141
	v_mul_f16_e32 v141, 0x3836, v101
	v_add_f16_e32 v145, v128, v127
	v_mul_f16_e32 v127, 0xbbb2, v99
	v_fmamk_f16 v146, v137, 0xbacd, v141
	v_fmamk_f16 v128, v139, 0xb461, v127
	v_fma_f16 v127, v139, 0xb461, -v127
	v_add_f16_sdwa v128, v128, v0 dst_sel:DWORD dst_unused:UNUSED_PAD src0_sel:DWORD src1_sel:WORD_1
	v_add_f16_sdwa v127, v127, v0 dst_sel:DWORD dst_unused:UNUSED_PAD src0_sel:DWORD src1_sel:WORD_1
	v_add_f16_e32 v146, v146, v128
	v_fma_f16 v128, v137, 0xbacd, -v141
	v_mul_f16_e32 v141, 0x3bb2, v101
	v_add_f16_e32 v147, v128, v127
	v_mul_f16_e32 v127, 0xba62, v99
	v_fmamk_f16 v148, v137, 0xb461, v141
	v_fmamk_f16 v128, v139, 0xb8d2, v127
	v_fma_f16 v127, v139, 0xb8d2, -v127
	v_add_f16_sdwa v128, v128, v0 dst_sel:DWORD dst_unused:UNUSED_PAD src0_sel:DWORD src1_sel:WORD_1
	v_add_f16_sdwa v127, v127, v0 dst_sel:DWORD dst_unused:UNUSED_PAD src0_sel:DWORD src1_sel:WORD_1
	v_add_f16_e32 v148, v148, v128
	v_fma_f16 v128, v137, 0xb461, -v141
	v_mul_f16_e32 v141, 0x3b29, v101
	v_add_f16_e32 v149, v128, v127
	v_fma_f16 v127, v54, 0xbacd, -v104
	v_fma_f16 v128, v57, 0x3722, -v125
	v_fmac_f16_e32 v104, 0xbacd, v54
	v_fmac_f16_e32 v125, 0x3722, v57
	v_fmamk_f16 v151, v137, 0x3722, v141
	v_add_f16_e32 v127, v127, v0
	v_add_f16_e32 v104, v104, v0
	;; [unrolled: 1-line block ×3, first 2 shown]
	v_mul_f16_e32 v127, 0xb836, v99
	v_add_f16_e32 v104, v125, v104
	v_fma_f16 v125, v139, 0xbacd, -v127
	v_fmamk_f16 v128, v139, 0xbacd, v127
	v_fma_f16 v127, v137, 0x3722, -v141
	v_add_f16_sdwa v125, v125, v0 dst_sel:DWORD dst_unused:UNUSED_PAD src0_sel:DWORD src1_sel:WORD_1
	v_add_f16_sdwa v128, v128, v0 dst_sel:DWORD dst_unused:UNUSED_PAD src0_sel:DWORD src1_sel:WORD_1
	v_add_f16_e32 v152, v127, v125
	v_pk_mul_f16 v127, 0xb1e1b5c8, v99
	v_add_f16_e32 v151, v151, v128
	v_pk_mul_f16 v128, 0x35c8b964, v101
	v_mul_f16_e32 v101, 0x35c8, v101
	v_fma_f16 v99, v139, 0xbbdd, -v154
	v_pk_fma_f16 v125, 0x3b76bbdd, v54, v127 op_sel:[0,0,1] op_sel_hi:[1,1,0] neg_lo:[0,0,1] neg_hi:[0,0,1]
	v_pk_fma_f16 v141, 0x39e93b76, v57, v128 op_sel:[0,0,1] op_sel_hi:[1,1,0] neg_lo:[0,0,1] neg_hi:[0,0,1]
	v_add_f16_sdwa v99, v99, v0 dst_sel:DWORD dst_unused:UNUSED_PAD src0_sel:DWORD src1_sel:WORD_1
	v_pk_add_f16 v125, v125, v0
	v_pk_add_f16 v153, v141, v125
	v_fma_f16 v125, v137, 0x3b76, -v101
	v_lshrrev_b32_e32 v141, 16, v58
	v_add_f16_e32 v99, v125, v99
	v_mul_f16_e32 v125, 0xba62, v100
	v_fma_f16 v155, v141, 0xb8d2, -v125
	v_add_f16_e32 v155, v155, v140
	v_mul_f16_e32 v140, 0x31e1, v100
	v_fma_f16 v156, v141, 0xbbdd, -v140
	v_add_f16_e32 v156, v156, v142
	v_fmamk_f16 v142, v141, 0xb461, v126
	v_fma_f16 v126, v141, 0xb461, -v126
	v_add_f16_e32 v158, v142, v144
	v_add_f16_e32 v145, v126, v145
	v_mul_f16_e32 v126, 0x3964, v100
	v_lshrrev_b32_e32 v144, 16, v59
	v_fmamk_f16 v142, v141, 0x39e9, v126
	v_fma_f16 v126, v141, 0x39e9, -v126
	v_add_f16_e32 v146, v142, v146
	v_add_f16_e32 v147, v126, v147
	v_mul_f16_e32 v126, 0xb5c8, v100
	v_fmamk_f16 v142, v141, 0x3b76, v126
	v_fma_f16 v126, v141, 0x3b76, -v126
	v_add_f16_e32 v148, v142, v148
	v_add_f16_e32 v149, v126, v149
	v_fma_f16 v126, v58, 0x2de8, -v97
	v_fmac_f16_e32 v97, 0x2de8, v58
	v_add_f16_e32 v150, v126, v150
	v_mul_f16_e32 v126, 0xbbf7, v100
	v_add_f16_e32 v97, v97, v104
	v_fmamk_f16 v142, v141, 0x2de8, v126
	v_fma_f16 v104, v141, 0x2de8, -v126
	v_add_f16_e32 v151, v142, v151
	v_pk_mul_f16 v142, 0xb836bb29, v100
	v_mul_f16_e32 v100, 0xb836, v100
	v_add_f16_e32 v104, v104, v152
	v_pk_fma_f16 v126, 0x3722bacd, v58, v142 op_sel:[0,0,1] op_sel_hi:[1,1,0] neg_lo:[0,0,1] neg_hi:[0,0,1]
	v_pk_add_f16 v152, v126, v153
	v_fma_f16 v126, v141, 0xbacd, -v100
	v_add_f16_e32 v99, v126, v99
	v_mul_f16_e32 v126, 0xb1e1, v98
	v_fma_f16 v143, v144, 0xbbdd, -v126
	v_add_f16_e32 v153, v143, v155
	v_mul_f16_e32 v143, 0x3bb2, v98
	v_fma_f16 v155, v144, 0xb461, -v143
	v_add_f16_e32 v155, v155, v156
	v_add_f16_e32 v156, v122, v157
	v_mul_f16_e32 v122, 0x35c8, v98
	v_fmamk_f16 v157, v144, 0x3b76, v122
	v_fma_f16 v122, v144, 0x3b76, -v122
	v_add_f16_e32 v157, v157, v158
	v_add_f16_e32 v158, v122, v145
	v_mul_f16_e32 v122, 0xbb29, v98
	v_fmamk_f16 v145, v144, 0x3722, v122
	v_fma_f16 v122, v144, 0x3722, -v122
	v_add_f16_e32 v159, v145, v146
	v_add_f16_e32 v147, v122, v147
	v_mul_f16_e32 v122, 0xb836, v98
	v_lshrrev_b32_e32 v146, 16, v94
	v_fmamk_f16 v145, v144, 0xbacd, v122
	v_fma_f16 v122, v144, 0xbacd, -v122
	v_add_f16_e32 v148, v145, v148
	v_add_f16_e32 v149, v122, v149
	v_mul_f16_sdwa v122, v98, v123 dst_sel:DWORD dst_unused:UNUSED_PAD src0_sel:WORD_1 src1_sel:DWORD
	v_fma_f16 v123, v59, 0xb8d2, -v122
	v_fmac_f16_e32 v122, 0xb8d2, v59
	v_add_f16_e32 v150, v123, v150
	v_mul_f16_e32 v123, 0x3a62, v98
	v_add_f16_e32 v97, v122, v97
	v_fmamk_f16 v145, v144, 0xb8d2, v123
	v_fma_f16 v122, v144, 0xb8d2, -v123
	v_pk_mul_f16 v123, 0x3964bbf7, v98
	v_fma_f16 v98, v144, 0x39e9, -v161
	v_add_f16_e32 v151, v145, v151
	v_add_f16_e32 v104, v122, v104
	v_pk_fma_f16 v122, 0x2de839e9, v59, v123 op_sel:[0,0,1] op_sel_hi:[1,1,0] neg_lo:[0,0,1] neg_hi:[0,0,1]
	v_add_f16_e32 v98, v98, v99
	v_mul_f16_e32 v145, 0x3964, v96
	v_pk_add_f16 v152, v122, v152
	v_mul_f16_e32 v122, 0x3836, v96
	v_fma_f16 v99, v146, 0xbacd, -v122
	v_add_f16_e32 v99, v99, v153
	v_fma_f16 v153, v146, 0x39e9, -v145
	v_add_f16_e32 v153, v153, v155
	v_add_f16_e32 v155, v121, v156
	v_mul_f16_e32 v121, 0xbb29, v96
	v_add_f16_e32 v108, v108, v155
	v_fmamk_f16 v156, v146, 0x3722, v121
	v_fma_f16 v121, v146, 0x3722, -v121
	v_add_f16_e32 v165, v107, v108
	v_add_f16_e32 v156, v156, v157
	;; [unrolled: 1-line block ×3, first 2 shown]
	v_mul_f16_e32 v121, 0xb1e1, v96
	v_mul_f16_e32 v108, 0xb5c8, v102
	v_fmamk_f16 v158, v146, 0xbbdd, v121
	v_fma_f16 v121, v146, 0xbbdd, -v121
	v_add_f16_e32 v158, v158, v159
	v_add_f16_e32 v147, v121, v147
	v_mul_f16_e32 v121, 0x3bf7, v96
	v_fmamk_f16 v159, v146, 0x2de8, v121
	v_fma_f16 v121, v146, 0x2de8, -v121
	v_add_f16_e32 v159, v159, v148
	v_add_f16_e32 v160, v121, v149
	v_fma_f16 v121, v94, 0x3b76, -v46
	v_fmac_f16_e32 v46, 0x3b76, v94
	v_mul_f16_e32 v149, 0xb5c8, v103
	v_add_f16_e32 v150, v121, v150
	v_mul_f16_e32 v121, 0xb5c8, v96
	v_add_f16_e32 v46, v46, v97
	v_fmamk_f16 v148, v146, 0x3b76, v121
	v_fma_f16 v97, v146, 0x3b76, -v121
	v_mul_f16_e32 v121, 0x3bb2, v103
	v_add_f16_e32 v162, v148, v151
	v_pk_mul_f16 v148, 0xba62bbb2, v96
	v_fma_f16 v96, v146, 0xb8d2, -v163
	v_lshrrev_b32_e32 v151, 16, v95
	v_add_f16_e32 v97, v97, v104
	v_pk_fma_f16 v104, 0xb461b8d2, v94, v148 op_sel:[0,0,1] op_sel_hi:[1,1,0] neg_lo:[0,0,1] neg_hi:[0,0,1]
	v_add_f16_e32 v96, v96, v98
	v_fma_f16 v98, v151, 0xb461, -v121
	v_mul_f16_e32 v39, 0x3722, v151
	v_pk_add_f16 v104, v104, v152
	v_mul_f16_e32 v152, 0xb836, v103
	v_add_f16_e32 v98, v98, v99
	v_fma_f16 v99, v151, 0x3b76, -v149
	v_add_f16_e32 v99, v99, v153
	v_fmamk_f16 v153, v151, 0xbacd, v152
	v_fma_f16 v152, v151, 0xbacd, -v152
	v_add_f16_e32 v155, v153, v156
	v_add_f16_e32 v156, v152, v157
	v_mul_f16_e32 v152, 0x3bf7, v103
	v_lshrrev_b32_e32 v157, 16, v109
	v_fmamk_f16 v153, v151, 0x2de8, v152
	v_fma_f16 v152, v151, 0x2de8, -v152
	v_mul_f16_e32 v38, 0xb461, v157
	v_add_f16_e32 v158, v153, v158
	v_add_f16_e32 v164, v152, v147
	v_mul_f16_e32 v147, 0xb964, v103
	v_pk_mul_f16 v153, 0x3b29ba62, v103
	v_fmamk_f16 v152, v151, 0x39e9, v147
	v_fma_f16 v147, v151, 0x39e9, -v147
	v_bfi_b32 v39, 0xffff, v39, v153
	v_add_f16_e32 v159, v152, v159
	v_add_f16_e32 v160, v147, v160
	v_fma_f16 v147, v95, 0xbbdd, -v90
	v_fmac_f16_e32 v90, 0xbbdd, v95
	v_add_f16_e32 v150, v147, v150
	v_mul_f16_e32 v147, 0xb1e1, v103
	v_add_f16_e32 v46, v90, v46
	v_fma_f16 v90, v151, 0xbbdd, -v147
	v_fmamk_f16 v152, v151, 0xbbdd, v147
	v_mul_f16_e32 v147, 0x3b29, v102
	v_add_f16_e32 v90, v90, v97
	v_pk_fma_f16 v97, 0xb8d23722, v95, v153 op_sel:[0,0,1] op_sel_hi:[1,1,0] neg_lo:[0,0,1] neg_hi:[0,0,1]
	v_add_f16_e32 v162, v152, v162
	v_mul_f16_e32 v152, 0xbbf7, v102
	v_pk_add_f16 v97, v97, v104
	v_mul_f16_e32 v104, 0x3b29, v103
	v_fma_f16 v103, v151, 0x3722, -v104
	v_pack_b32_f16 v37, v104, v28
	v_add_f16_e32 v96, v103, v96
	v_fma_f16 v103, v157, 0x3722, -v147
	v_pk_add_f16 v37, v37, v39
	v_mul_f16_e32 v39, 0x3bf7, v105
	v_add_f16_e32 v98, v103, v98
	v_fma_f16 v103, v157, 0x2de8, -v152
	v_add_f16_e32 v99, v103, v99
	v_mul_f16_e32 v103, 0x3a62, v102
	v_fmamk_f16 v107, v157, 0xb8d2, v103
	v_fma_f16 v103, v157, 0xb8d2, -v103
	v_add_f16_e32 v107, v107, v155
	v_add_f16_e32 v103, v103, v156
	v_fmamk_f16 v155, v157, 0x3b76, v108
	v_mul_f16_e32 v156, 0xb1e1, v102
	v_fma_f16 v108, v157, 0x3b76, -v108
	v_add_f16_e32 v155, v155, v158
	v_fmamk_f16 v158, v157, 0xbbdd, v156
	v_fma_f16 v156, v157, 0xbbdd, -v156
	v_add_f16_e32 v108, v108, v164
	v_add_f16_e32 v164, v158, v159
	;; [unrolled: 1-line block ×3, first 2 shown]
	v_fma_f16 v156, v109, 0x39e9, -v106
	v_fmac_f16_e32 v106, 0x39e9, v109
	v_pk_mul_f16 v159, 0xbbb2b836, v102
	v_lshrrev_b32_e32 v160, 16, v110
	v_mul_f16_e32 v158, 0xb836, v105
	v_add_f16_e32 v167, v156, v150
	v_mul_f16_e32 v150, 0x3964, v102
	v_add_f16_e32 v168, v106, v46
	v_mul_f16_e32 v106, 0xbbb2, v102
	v_pk_fma_f16 v102, 0x3b76bbdd, v54, v127 op_sel:[0,0,1] op_sel_hi:[1,1,0]
	v_fmamk_f16 v35, v160, 0xb461, v34
	v_fma_f16 v46, v157, 0x39e9, -v150
	v_fmamk_f16 v156, v157, 0x39e9, v150
	v_mul_f16_e32 v150, 0x35c8, v105
	v_pack_b32_f16 v101, v101, v102
	v_mul_f16_e32 v102, 0x3b76, v137
	v_add_f16_e32 v46, v46, v90
	v_pk_fma_f16 v90, 0xbacdb461, v109, v159 op_sel:[0,0,1] op_sel_hi:[1,1,0] neg_lo:[0,0,1] neg_hi:[0,0,1]
	v_add_f16_e32 v162, v156, v162
	v_pk_mul_f16 v156, 0x2de839e9, v59
	v_perm_b32 v102, v0, v102, 0x5040100
	v_bfi_b32 v38, 0xffff, v38, v159
	v_pk_add_f16 v90, v90, v97
	v_fma_f16 v97, v157, 0xb461, -v106
	v_add_f16_e32 v104, v35, v162
	v_pk_add_f16 v102, v101, v102
	v_fmamk_f16 v101, v139, 0xbbdd, v154
	v_pk_mul_f16 v154, 0x39e93b76, v57
	v_add_f16_e32 v169, v97, v96
	v_fma_f16 v96, v160, 0x3b76, -v150
	v_fma_f16 v97, v160, 0xbacd, -v158
	v_add_f16_e32 v35, v132, v31
	v_pack_b32_f16 v101, v101, v154
	v_pk_mul_f16 v31, 0xbacdb461, v109
	v_add_f16_e32 v96, v96, v98
	v_mul_f16_e32 v98, 0x3964, v105
	v_add_f16_e32 v97, v97, v99
	v_add_f16_e32 v35, v133, v35
	v_fma_f16 v34, v160, 0xb461, -v34
	v_fmamk_f16 v99, v160, 0x39e9, v98
	v_fma_f16 v98, v160, 0x39e9, -v98
	v_add_f16_e32 v35, v135, v35
	v_add_f16_e32 v99, v99, v107
	;; [unrolled: 1-line block ×3, first 2 shown]
	v_perm_b32 v103, v128, v0, 0x7060302
	v_mul_f16_e32 v107, 0xba62, v105
	v_add_f16_e32 v29, v29, v35
	v_pk_add_f16 v103, v101, v103
	v_fmamk_f16 v101, v160, 0xb8d2, v107
	v_pk_add_f16 v102, v103, v102
	v_add_f16_e32 v101, v101, v155
	v_pk_mul_f16 v155, 0x3722bacd, v58
	v_mul_f16_e32 v103, 0xbacd, v141
	v_pack_b32_f16 v100, v100, v155
	v_bfi_b32 v103, 0xffff, v103, v142
	v_pk_add_f16 v103, v100, v103
	v_fma_f16 v100, v160, 0xb8d2, -v107
	v_mul_f16_e32 v107, 0x39e9, v144
	v_pk_add_f16 v103, v103, v102
	v_pack_b32_f16 v102, v161, v156
	v_bfi_b32 v107, 0xffff, v107, v123
	v_mul_f16_e32 v161, 0xb8d2, v146
	v_add_f16_e32 v100, v100, v108
	v_mul_f16_e32 v108, 0x3b29, v105
	v_pk_add_f16 v107, v102, v107
	v_bfi_b32 v161, 0xffff, v161, v148
	v_fma_f16 v32, v160, 0x3722, -v108
	v_fmamk_f16 v102, v160, 0x3722, v108
	v_pk_add_f16 v107, v107, v103
	v_pack_b32_f16 v103, v163, v36
	v_add_f16_e32 v102, v102, v164
	v_pk_add_f16 v161, v103, v161
	v_add_f16_e32 v103, v32, v166
	v_pk_add_f16 v32, v161, v107
	v_pk_add_f16 v32, v37, v32
	v_pack_b32_f16 v37, v106, v31
	v_add_f16_e32 v106, v34, v46
	v_add_f16_e32 v46, v119, v165
	v_pk_add_f16 v37, v37, v38
	v_mul_f16_sdwa v38, v105, v43 dst_sel:DWORD dst_unused:UNUSED_PAD src0_sel:WORD_1 src1_sel:DWORD
	v_pk_add_f16 v34, v37, v32
	v_add_f16_e32 v37, v134, v33
	v_pk_mul_f16 v33, 0x3bf7b1e1, v105
	v_mul_f16_e32 v32, 0x2de8, v160
	v_add_f16_e32 v30, v30, v37
	v_pk_fma_f16 v35, 0xbbdd2de8, v110, v33 op_sel:[0,0,1] op_sel_hi:[1,1,0] neg_lo:[0,0,1] neg_hi:[0,0,1]
	v_bfi_b32 v40, 0xffff, v32, v33
	v_pk_mul_f16 v32, 0xbbdd2de8, v110
	v_pack_b32_f16 v29, v30, v29
	v_fma_f16 v30, v160, 0x2de8, -v39
	v_pk_add_f16 v105, v35, v90
	v_pack_b32_f16 v41, v39, v32
	ds_write_b32 v89, v29 offset:64
	v_fma_f16 v29, v110, 0xb461, -v38
	v_fmac_f16_e32 v38, 0xb461, v110
	v_pk_add_f16 v40, v41, v40
	v_add_f16_e32 v107, v30, v169
	v_add_f16_e32 v43, v29, v167
	v_add_co_u32 v29, null, v84, 17
	v_pk_add_f16 v108, v40, v34
	v_add_f16_e32 v42, v38, v168
	v_mul_u32_u24_e32 v90, 17, v29
	s_and_saveexec_b32 s2, vcc_lo
	s_cbranch_execz .LBB0_7
; %bb.6:
	v_mul_f16_e32 v34, 0x39e9, v139
	v_mul_f16_e32 v40, 0x2de8, v137
	;; [unrolled: 1-line block ×4, first 2 shown]
	v_pk_add_f16 v1, v1, v0
	v_add_f16_e32 v34, v130, v34
	v_add_f16_e32 v27, v27, v40
	v_mul_f16_e32 v39, 0x2de8, v57
	v_mul_f16_e32 v134, 0xbbdd, v144
	v_sub_f16_e32 v30, v30, v50
	v_add_f16_sdwa v34, v34, v0 dst_sel:DWORD dst_unused:UNUSED_PAD src0_sel:DWORD src1_sel:WORD_1
	v_pk_add_f16 v1, v23, v1
	v_mul_f16_e32 v37, 0x3722, v139
	v_mul_f16_e32 v120, 0xb8d2, v58
	;; [unrolled: 1-line block ×3, first 2 shown]
	v_add_f16_e32 v27, v27, v34
	v_add_f16_e32 v34, v125, v124
	;; [unrolled: 1-line block ×3, first 2 shown]
	v_sub_f16_e32 v39, v39, v52
	v_pk_add_f16 v1, v24, v1
	v_mul_f16_e32 v133, 0xbbdd, v59
	v_add_f16_e32 v27, v34, v27
	v_add_f16_e32 v34, v126, v134
	v_mul_f16_e32 v161, 0xb461, v151
	v_add_f16_e32 v30, v39, v30
	v_sub_f16_e32 v39, v120, v53
	v_pk_add_f16 v1, v25, v1
	v_add_f16_e32 v27, v34, v27
	v_add_f16_e32 v34, v122, v139
	v_mul_f16_e32 v38, 0x39e9, v57
	v_mul_f16_e32 v41, 0xb8d2, v57
	;; [unrolled: 1-line block ×3, first 2 shown]
	v_add_f16_e32 v37, v131, v37
	v_mul_f16_e32 v29, 0x3b76, v54
	v_mul_f16_e32 v35, 0x3722, v54
	;; [unrolled: 1-line block ×4, first 2 shown]
	v_pk_mul_f16 v54, 0x3b76bbdd, v54
	v_add_f16_e32 v27, v34, v27
	v_add_f16_e32 v34, v121, v161
	;; [unrolled: 1-line block ×3, first 2 shown]
	v_sub_f16_e32 v30, v133, v56
	v_pk_add_f16 v1, v26, v1
	v_mul_f16_e32 v129, 0xbbdd, v141
	v_add_f16_sdwa v37, v37, v0 dst_sel:DWORD dst_unused:UNUSED_PAD src0_sel:DWORD src1_sel:WORD_1
	v_add_f16_e32 v57, v136, v57
	v_mul_f16_e32 v141, 0x39e9, v146
	v_mul_f16_e32 v146, 0xb461, v95
	v_alignbit_b32 v127, v127, v127, 16
	v_add_f16_e32 v27, v34, v27
	v_add_f16_e32 v24, v147, v163
	;; [unrolled: 1-line block ×3, first 2 shown]
	v_sub_f16_e32 v30, v138, v62
	v_bfi_b32 v25, 0xffff, v45, v54
	v_pk_add_f16 v1, v10, v1
	v_mul_f16_e32 v135, 0xb461, v144
	v_add_f16_e32 v37, v57, v37
	v_add_f16_e32 v57, v140, v129
	v_alignbit_b32 v128, v128, v128, 16
	v_add_f16_e32 v24, v24, v27
	v_add_f16_e32 v23, v30, v23
	v_sub_f16_e32 v27, v146, v64
	v_pk_add_f16 v25, v29, v25 neg_lo:[0,1] neg_hi:[0,1]
	v_pk_add_f16 v26, v127, v54
	v_bfi_b32 v30, 0xffff, v48, v154
	v_pk_add_f16 v1, v11, v1
	v_add_f16_e32 v37, v57, v37
	v_add_f16_e32 v57, v143, v135
	v_sub_f16_e32 v35, v35, v111
	v_mul_f16_e32 v119, 0x3722, v58
	v_alignbit_b32 v135, v142, v142, 16
	v_add_f16_e32 v10, v27, v23
	v_bfi_b32 v23, 0xffff, v25, v26
	v_bfi_b32 v25, 0xffff, v51, v155
	v_pk_add_f16 v26, v38, v30 neg_lo:[0,1] neg_hi:[0,1]
	v_pk_add_f16 v11, v128, v154
	v_pk_add_f16 v1, v8, v1
	v_mul_f16_e32 v58, 0xbbdd, v58
	v_mul_f16_e32 v151, 0x3b76, v151
	v_add_f16_e32 v37, v57, v37
	v_add_f16_e32 v57, v145, v141
	;; [unrolled: 1-line block ×3, first 2 shown]
	v_sub_f16_e32 v41, v41, v112
	v_mul_f16_e32 v132, 0x2de8, v59
	v_alignbit_b32 v111, v123, v123, 16
	v_bfi_b32 v27, 0xffff, v55, v156
	v_pk_add_f16 v25, v119, v25 neg_lo:[0,1] neg_hi:[0,1]
	v_pk_add_f16 v30, v135, v155
	v_bfi_b32 v8, 0xffff, v26, v11
	v_pk_add_f16 v1, v9, v1
	v_pk_add_f16 v0, v23, v0
	v_mul_f16_e32 v59, 0xb461, v59
	v_mul_f16_e32 v157, 0x2de8, v157
	v_add_f16_e32 v37, v57, v37
	v_add_f16_e32 v57, v149, v151
	;; [unrolled: 1-line block ×3, first 2 shown]
	v_sub_f16_e32 v41, v58, v115
	v_mul_f16_e32 v137, 0xb461, v94
	v_alignbit_b32 v123, v148, v148, 16
	v_pk_add_f16 v11, v132, v27 neg_lo:[0,1] neg_hi:[0,1]
	v_pk_add_f16 v26, v111, v156
	v_bfi_b32 v25, 0xffff, v25, v30
	v_bfi_b32 v9, 0xffff, v60, v36
	v_pk_add_f16 v1, v6, v1
	v_pk_add_f16 v0, v8, v0
	v_mul_f16_e32 v94, 0x39e9, v94
	v_mul_f16_e32 v129, 0xbacd, v160
	v_add_f16_e32 v37, v57, v37
	v_add_f16_e32 v57, v152, v157
	;; [unrolled: 1-line block ×3, first 2 shown]
	v_sub_f16_e32 v41, v59, v114
	v_mul_f16_e32 v144, 0xb8d2, v95
	v_alignbit_b32 v112, v153, v153, 16
	v_bfi_b32 v11, 0xffff, v11, v26
	v_bfi_b32 v23, 0xffff, v61, v28
	v_pk_add_f16 v6, v137, v9 neg_lo:[0,1] neg_hi:[0,1]
	v_pk_add_f16 v8, v123, v36
	v_pk_add_f16 v1, v7, v1
	;; [unrolled: 1-line block ×3, first 2 shown]
	v_mul_f16_e32 v95, 0x3b76, v95
	v_add_f16_e32 v37, v57, v37
	v_add_f16_e32 v40, v158, v129
	;; [unrolled: 1-line block ×3, first 2 shown]
	v_sub_f16_e32 v41, v94, v117
	v_mul_f16_e32 v162, 0xbacd, v109
	v_alignbit_b32 v140, v159, v159, 16
	v_pk_add_f16 v9, v144, v23 neg_lo:[0,1] neg_hi:[0,1]
	v_pk_add_f16 v7, v112, v28
	v_bfi_b32 v23, 0xffff, v63, v31
	v_bfi_b32 v6, 0xffff, v6, v8
	v_pk_add_f16 v1, v4, v1
	v_pk_add_f16 v0, v11, v0
	v_mul_f16_e32 v131, 0x3722, v109
	v_mul_f16_e32 v109, 0x2de8, v109
	v_add_f16_e32 v37, v40, v37
	v_add_f16_e32 v35, v41, v35
	v_sub_f16_e32 v40, v95, v116
	v_mul_f16_e32 v136, 0xbbdd, v110
	v_alignbit_b32 v33, v33, v33, 16
	v_bfi_b32 v4, 0xffff, v9, v7
	v_pk_add_f16 v7, v162, v23 neg_lo:[0,1] neg_hi:[0,1]
	v_pk_add_f16 v8, v140, v31
	v_pk_add_f16 v1, v5, v1
	;; [unrolled: 1-line block ×3, first 2 shown]
	v_bfi_b32 v5, 0xffff, v93, v32
	v_mul_f16_e32 v164, 0x3b76, v110
	v_mul_f16_e32 v165, 0x3b76, v160
	;; [unrolled: 1-line block ×3, first 2 shown]
	v_add_f16_e32 v35, v40, v35
	v_sub_f16_e32 v40, v109, v118
	v_sub_f16_e32 v6, v131, v91
	v_bfi_b32 v7, 0xffff, v7, v8
	v_pk_add_f16 v1, v2, v1
	v_pk_add_f16 v0, v4, v0
	v_pk_add_f16 v2, v136, v5 neg_lo:[0,1] neg_hi:[0,1]
	v_pk_add_f16 v4, v33, v32
	v_add_f16_e32 v35, v40, v35
	v_sub_f16_e32 v39, v110, v113
	v_add_f16_e32 v29, v150, v165
	v_add_f16_e32 v5, v6, v10
	v_sub_f16_e32 v6, v164, v92
	v_pk_add_f16 v1, v3, v1
	v_pk_add_f16 v0, v7, v0
	v_bfi_b32 v2, 0xffff, v2, v4
	v_add_f16_e32 v34, v39, v35
	v_add_f16_e32 v3, v29, v24
	;; [unrolled: 1-line block ×3, first 2 shown]
	v_lshl_add_u32 v5, v90, 2, v88
	v_pk_add_f16 v1, v44, v1
	v_pk_add_f16 v0, v2, v0
	v_pack_b32_f16 v2, v34, v37
	v_pack_b32_f16 v3, v4, v3
	v_perm_b32 v4, v101, v19, 0x5040100
	v_perm_b32 v6, v99, v46, 0x5040100
	;; [unrolled: 1-line block ×4, first 2 shown]
	ds_write2_b32 v5, v1, v0 offset1:1
	ds_write2_b32 v5, v3, v2 offset0:2 offset1:3
	ds_write2_b32 v5, v6, v4 offset0:4 offset1:5
	;; [unrolled: 1-line block ×3, first 2 shown]
	v_perm_b32 v0, v108, v105, 0x5040100
	v_alignbit_b32 v1, v107, v108, 16
	v_perm_b32 v2, v103, v21, 0x5040100
	v_perm_b32 v3, v106, v42, 0x5040100
	;; [unrolled: 1-line block ×6, first 2 shown]
	v_bfi_b32 v9, 0xffff, v16, v105
	ds_write2_b32 v5, v0, v1 offset0:8 offset1:9
	ds_write2_b32 v5, v3, v2 offset0:10 offset1:11
	;; [unrolled: 1-line block ×4, first 2 shown]
	ds_write_b32 v5, v9 offset:64
.LBB0_7:
	s_or_b32 exec_lo, exec_lo, s2
	v_add_nc_u16 v1, v84, 51
	v_add_nc_u16 v3, v84, 0x44
	v_lshlrev_b32_e32 v0, 3, v84
	s_waitcnt lgkmcnt(0)
	s_barrier
	v_and_b32_e32 v4, 0xff, v1
	v_and_b32_e32 v6, 0xff, v3
	buffer_gl0_inv
	global_load_dwordx2 v[23:24], v0, s[0:1]
	v_add_nc_u16 v5, v84, 0x55
	v_mul_lo_u16 v4, 0xf1, v4
	v_mul_lo_u16 v6, 0xf1, v6
	v_add_nc_u16 v7, v84, 0x66
	v_add_nc_u32_e32 v41, 0x400, v65
	v_and_b32_e32 v8, 0xff, v5
	v_lshrrev_b16 v4, 12, v4
	v_lshrrev_b16 v6, 12, v6
	v_and_b32_e32 v9, 0xff, v7
	v_mad_u64_u32 v[44:45], null, v84, 24, s[0:1]
	v_mul_lo_u16 v4, v4, 17
	v_mul_lo_u16 v6, v6, 17
	;; [unrolled: 1-line block ×3, first 2 shown]
	v_sub_nc_u16 v52, v1, v4
	v_sub_nc_u16 v53, v3, v6
	v_lshlrev_b16 v3, 1, v52
	v_and_b32_e32 v52, 0xff, v52
	v_and_b32_e32 v3, 0xfe, v3
	v_lshl_add_u32 v94, v52, 2, v88
	v_lshlrev_b32_e32 v3, 2, v3
	global_load_dwordx2 v[31:32], v3, s[0:1]
	v_add_nc_u16 v0, v84, 34
	v_and_b32_e32 v2, 0xff, v0
	v_mul_lo_u16 v2, 0xf1, v2
	v_lshrrev_b16 v2, 12, v2
	v_mul_lo_u16 v2, v2, 17
	v_sub_nc_u16 v48, v0, v2
	v_lshrrev_b16 v2, 12, v8
	v_mul_lo_u16 v0, 0xf1, v9
	v_lshlrev_b16 v1, 1, v48
	v_mul_lo_u16 v2, v2, 17
	v_lshrrev_b16 v0, 12, v0
	v_and_b32_e32 v48, 0xff, v48
	v_and_b32_e32 v1, 0xfe, v1
	v_sub_nc_u16 v54, v5, v2
	v_lshlrev_b16 v2, 1, v53
	v_mul_lo_u16 v0, v0, 17
	v_and_b32_e32 v53, 0xff, v53
	v_lshlrev_b32_e32 v1, 2, v1
	v_lshl_add_u32 v95, v48, 2, v88
	v_and_b32_e32 v2, 0xfe, v2
	v_sub_nc_u16 v55, v7, v0
	v_lshlrev_b16 v0, 1, v54
	global_load_dwordx2 v[33:34], v1, s[0:1]
	v_and_b32_e32 v54, 0xff, v54
	v_lshlrev_b32_e32 v2, 2, v2
	v_lshl_add_u32 v93, v53, 2, v88
	v_and_b32_e32 v0, 0xfe, v0
	v_lshl_add_u32 v92, v54, 2, v88
	global_load_dwordx2 v[29:30], v2, s[0:1]
	v_lshlrev_b16 v1, 1, v55
	v_lshlrev_b32_e32 v0, 2, v0
	v_and_b32_e32 v55, 0xff, v55
	v_add_nc_u32_e32 v48, 0x200, v92
	v_and_b32_e32 v1, 0xfe, v1
	v_lshl_add_u32 v91, v55, 2, v88
	v_lshlrev_b32_e32 v1, 2, v1
	s_clause 0x1
	global_load_dwordx2 v[27:28], v0, s[0:1]
	global_load_dwordx2 v[25:26], v1, s[0:1]
	ds_read2_b32 v[0:1], v65 offset1:17
	ds_read2_b32 v[2:3], v65 offset0:102 offset1:119
	ds_read2_b32 v[4:5], v65 offset0:238 offset1:255
	;; [unrolled: 1-line block ×7, first 2 shown]
	ds_read_b32 v56, v65 offset:1360
	ds_read2_b32 v[39:40], v41 offset0:16 offset1:33
	ds_read2_b32 v[50:51], v41 offset0:50 offset1:67
	s_waitcnt vmcnt(0) lgkmcnt(0)
	s_barrier
	buffer_gl0_inv
	v_add_nc_u32_e32 v52, 0x400, v91
	s_add_u32 s0, s16, 0x594
	s_addc_u32 s1, s17, 0
	v_lshrrev_b32_e32 v57, 16, v0
	v_lshrrev_b32_e32 v58, 16, v3
	;; [unrolled: 1-line block ×21, first 2 shown]
	v_mul_f16_sdwa v53, v58, v23 dst_sel:DWORD dst_unused:UNUSED_PAD src0_sel:DWORD src1_sel:WORD_1
	v_mul_f16_sdwa v54, v3, v23 dst_sel:DWORD dst_unused:UNUSED_PAD src0_sel:DWORD src1_sel:WORD_1
	;; [unrolled: 1-line block ×8, first 2 shown]
	v_fma_f16 v3, v3, v23, -v53
	v_fmac_f16_e32 v54, v58, v23
	v_fma_f16 v4, v4, v24, -v55
	v_fmac_f16_e32 v122, v59, v24
	;; [unrolled: 2-line block ×4, first 2 shown]
	v_add_f16_e32 v55, v3, v4
	v_sub_f16_e32 v58, v54, v122
	v_add_f16_e32 v59, v57, v54
	v_add_f16_e32 v54, v54, v122
	v_add_f16_e32 v62, v6, v5
	v_sub_f16_e32 v123, v124, v126
	v_add_f16_e32 v125, v60, v124
	v_add_f16_e32 v124, v124, v126
	;; [unrolled: 1-line block ×3, first 2 shown]
	v_sub_f16_e32 v3, v3, v4
	v_fma_f16 v0, -0.5, v55, v0
	v_fmac_f16_e32 v57, -0.5, v54
	v_add_f16_e32 v61, v1, v6
	v_sub_f16_e32 v6, v6, v5
	v_fmac_f16_e32 v1, -0.5, v62
	v_fmac_f16_e32 v60, -0.5, v124
	v_add_f16_e32 v4, v53, v4
	v_add_f16_e32 v53, v59, v122
	v_fmamk_f16 v55, v58, 0x3aee, v0
	v_fmac_f16_e32 v0, 0xbaee, v58
	v_fmamk_f16 v58, v3, 0xbaee, v57
	v_add_f16_e32 v5, v61, v5
	v_add_f16_e32 v54, v125, v126
	v_fmac_f16_e32 v57, 0x3aee, v3
	v_fmamk_f16 v3, v123, 0x3aee, v1
	v_fmac_f16_e32 v1, 0xbaee, v123
	v_fmamk_f16 v59, v6, 0xbaee, v60
	v_fmac_f16_e32 v60, 0x3aee, v6
	v_pack_b32_f16 v4, v4, v53
	v_pack_b32_f16 v6, v55, v58
	;; [unrolled: 1-line block ×6, first 2 shown]
	ds_write2_b32 v65, v4, v6 offset1:17
	ds_write2_b32 v65, v0, v5 offset0:34 offset1:51
	ds_write2_b32 v65, v3, v1 offset0:68 offset1:85
	v_mul_f16_sdwa v5, v110, v31 dst_sel:DWORD dst_unused:UNUSED_PAD src0_sel:DWORD src1_sel:WORD_1
	v_mul_f16_sdwa v6, v10, v31 dst_sel:DWORD dst_unused:UNUSED_PAD src0_sel:DWORD src1_sel:WORD_1
	v_mul_f16_sdwa v53, v119, v32 dst_sel:DWORD dst_unused:UNUSED_PAD src0_sel:DWORD src1_sel:WORD_1
	v_mul_f16_sdwa v54, v40, v32 dst_sel:DWORD dst_unused:UNUSED_PAD src0_sel:DWORD src1_sel:WORD_1
	v_fma_f16 v5, v10, v31, -v5
	v_fmac_f16_e32 v6, v110, v31
	v_fmac_f16_e32 v54, v119, v32
	v_mul_f16_sdwa v0, v64, v33 dst_sel:DWORD dst_unused:UNUSED_PAD src0_sel:DWORD src1_sel:WORD_1
	v_mul_f16_sdwa v1, v7, v33 dst_sel:DWORD dst_unused:UNUSED_PAD src0_sel:DWORD src1_sel:WORD_1
	;; [unrolled: 1-line block ×4, first 2 shown]
	v_fma_f16 v0, v7, v33, -v0
	v_fmac_f16_e32 v1, v64, v33
	v_mul_f16_sdwa v55, v112, v29 dst_sel:DWORD dst_unused:UNUSED_PAD src0_sel:DWORD src1_sel:WORD_1
	v_mul_f16_sdwa v57, v11, v29 dst_sel:DWORD dst_unused:UNUSED_PAD src0_sel:DWORD src1_sel:WORD_1
	;; [unrolled: 1-line block ×4, first 2 shown]
	v_fma_f16 v3, v39, v34, -v3
	v_fmac_f16_e32 v4, v118, v34
	v_fma_f16 v7, v40, v32, -v53
	v_fma_f16 v10, v11, v29, -v55
	v_fmac_f16_e32 v57, v112, v29
	v_fma_f16 v11, v50, v30, -v58
	v_fmac_f16_e32 v59, v120, v30
	v_sub_f16_e32 v53, v1, v4
	v_add_f16_e32 v55, v63, v1
	v_add_f16_e32 v1, v1, v4
	v_mul_f16_sdwa v60, v114, v27 dst_sel:DWORD dst_unused:UNUSED_PAD src0_sel:DWORD src1_sel:WORD_1
	v_mul_f16_sdwa v61, v37, v27 dst_sel:DWORD dst_unused:UNUSED_PAD src0_sel:DWORD src1_sel:WORD_1
	;; [unrolled: 1-line block ×8, first 2 shown]
	v_fma_f16 v37, v37, v27, -v60
	v_fmac_f16_e32 v61, v114, v27
	v_fma_f16 v39, v51, v28, -v62
	v_fmac_f16_e32 v122, v121, v28
	;; [unrolled: 2-line block ×4, first 2 shown]
	v_add_f16_e32 v51, v0, v3
	v_add_f16_e32 v58, v5, v7
	v_sub_f16_e32 v60, v6, v54
	v_add_f16_e32 v62, v109, v6
	v_add_f16_e32 v6, v6, v54
	;; [unrolled: 1-line block ×4, first 2 shown]
	v_sub_f16_e32 v112, v57, v59
	v_add_f16_e32 v114, v111, v57
	v_add_f16_e32 v57, v57, v59
	v_add_f16_e32 v117, v37, v39
	v_sub_f16_e32 v118, v61, v122
	v_add_f16_e32 v119, v113, v61
	v_add_f16_e32 v61, v61, v122
	v_add_f16_e32 v121, v38, v40
	;; [unrolled: 4-line block ×3, first 2 shown]
	v_sub_f16_e32 v0, v0, v3
	v_add_f16_e32 v56, v9, v5
	v_fma_f16 v8, -0.5, v51, v8
	v_fmac_f16_e32 v63, -0.5, v1
	v_sub_f16_e32 v5, v5, v7
	v_fmac_f16_e32 v9, -0.5, v58
	v_fmac_f16_e32 v109, -0.5, v6
	v_sub_f16_e32 v10, v10, v11
	v_add_f16_e32 v116, v36, v37
	v_sub_f16_e32 v37, v37, v39
	v_add_f16_e32 v120, v2, v38
	;; [unrolled: 2-line block ×3, first 2 shown]
	v_fma_f16 v11, -0.5, v110, v35
	v_fmac_f16_e32 v111, -0.5, v57
	v_fmac_f16_e32 v36, -0.5, v117
	;; [unrolled: 1-line block ×5, first 2 shown]
	v_add_f16_e32 v3, v50, v3
	v_add_f16_e32 v4, v55, v4
	;; [unrolled: 1-line block ×5, first 2 shown]
	v_fmamk_f16 v54, v53, 0x3aee, v8
	v_fmac_f16_e32 v8, 0xbaee, v53
	v_fmamk_f16 v53, v0, 0xbaee, v63
	v_fmac_f16_e32 v63, 0x3aee, v0
	v_fmamk_f16 v0, v60, 0x3aee, v9
	v_fmamk_f16 v55, v5, 0xbaee, v109
	v_fmac_f16_e32 v9, 0xbaee, v60
	v_fmac_f16_e32 v109, 0x3aee, v5
	v_add_f16_e32 v39, v116, v39
	v_add_f16_e32 v50, v119, v122
	;; [unrolled: 1-line block ×4, first 2 shown]
	v_fmamk_f16 v5, v112, 0x3aee, v11
	v_fmac_f16_e32 v11, 0xbaee, v112
	v_fmamk_f16 v56, v10, 0xbaee, v111
	v_fmac_f16_e32 v111, 0x3aee, v10
	;; [unrolled: 2-line block ×6, first 2 shown]
	v_pack_b32_f16 v3, v3, v4
	v_pack_b32_f16 v4, v6, v35
	;; [unrolled: 1-line block ×15, first 2 shown]
	ds_write2_b32 v95, v3, v35 offset0:102 offset1:119
	ds_write_b32 v95, v8 offset:544
	ds_write2_b32 v94, v1, v0 offset0:153 offset1:170
	ds_write_b32 v94, v9 offset:748
	;; [unrolled: 2-line block ×5, first 2 shown]
	s_waitcnt lgkmcnt(0)
	s_barrier
	buffer_gl0_inv
	s_clause 0x5
	global_load_dwordx4 v[8:11], v[44:45], off offset:136
	global_load_dwordx2 v[39:40], v[44:45], off offset:152
	global_load_dwordx4 v[4:7], v[44:45], off offset:544
	global_load_dwordx2 v[37:38], v[44:45], off offset:560
	;; [unrolled: 2-line block ×3, first 2 shown]
	ds_read2_b32 v[44:45], v65 offset0:34 offset1:51
	ds_read2_b32 v[50:51], v65 offset0:102 offset1:119
	;; [unrolled: 1-line block ×9, first 2 shown]
	ds_read_b32 v58, v65 offset:1360
	v_lshl_add_u32 v115, v47, 2, v49
	ds_read2_b32 v[47:48], v65 offset1:17
	v_add_nc_u32_e32 v59, 0x200, v65
	v_add_nc_u32_e32 v64, 0x400, v115
	s_waitcnt lgkmcnt(10)
	v_lshrrev_b32_e32 v113, 16, v45
	s_waitcnt lgkmcnt(9)
	v_lshrrev_b32_e32 v114, 16, v50
	;; [unrolled: 2-line block ×7, first 2 shown]
	v_lshrrev_b32_e32 v121, 16, v51
	s_waitcnt lgkmcnt(3)
	v_lshrrev_b32_e32 v122, 16, v109
	v_lshrrev_b32_e32 v123, 16, v55
	s_waitcnt lgkmcnt(2)
	v_lshrrev_b32_e32 v124, 16, v111
	v_lshrrev_b32_e32 v125, 16, v61
	;; [unrolled: 1-line block ×5, first 2 shown]
	s_waitcnt lgkmcnt(1)
	v_lshrrev_b32_e32 v131, 16, v58
	v_lshrrev_b32_e32 v128, 16, v110
	;; [unrolled: 1-line block ×3, first 2 shown]
	s_waitcnt vmcnt(5)
	v_mul_f16_sdwa v132, v113, v8 dst_sel:DWORD dst_unused:UNUSED_PAD src0_sel:DWORD src1_sel:WORD_1
	v_mul_f16_sdwa v133, v45, v8 dst_sel:DWORD dst_unused:UNUSED_PAD src0_sel:DWORD src1_sel:WORD_1
	v_mul_f16_sdwa v134, v114, v9 dst_sel:DWORD dst_unused:UNUSED_PAD src0_sel:DWORD src1_sel:WORD_1
	v_mul_f16_sdwa v135, v50, v9 dst_sel:DWORD dst_unused:UNUSED_PAD src0_sel:DWORD src1_sel:WORD_1
	s_waitcnt vmcnt(4)
	v_mul_f16_sdwa v140, v118, v39 dst_sel:DWORD dst_unused:UNUSED_PAD src0_sel:DWORD src1_sel:WORD_1
	v_mul_f16_sdwa v141, v57, v39 dst_sel:DWORD dst_unused:UNUSED_PAD src0_sel:DWORD src1_sel:WORD_1
	v_mul_f16_sdwa v142, v119, v40 dst_sel:DWORD dst_unused:UNUSED_PAD src0_sel:DWORD src1_sel:WORD_1
	v_mul_f16_sdwa v143, v60, v40 dst_sel:DWORD dst_unused:UNUSED_PAD src0_sel:DWORD src1_sel:WORD_1
	v_mul_f16_sdwa v136, v116, v10 dst_sel:DWORD dst_unused:UNUSED_PAD src0_sel:DWORD src1_sel:WORD_1
	v_mul_f16_sdwa v137, v53, v10 dst_sel:DWORD dst_unused:UNUSED_PAD src0_sel:DWORD src1_sel:WORD_1
	v_mul_f16_sdwa v138, v117, v11 dst_sel:DWORD dst_unused:UNUSED_PAD src0_sel:DWORD src1_sel:WORD_1
	v_mul_f16_sdwa v139, v54, v11 dst_sel:DWORD dst_unused:UNUSED_PAD src0_sel:DWORD src1_sel:WORD_1
	s_waitcnt vmcnt(3)
	v_mul_f16_sdwa v144, v120, v4 dst_sel:DWORD dst_unused:UNUSED_PAD src0_sel:DWORD src1_sel:WORD_1
	v_mul_f16_sdwa v145, v62, v4 dst_sel:DWORD dst_unused:UNUSED_PAD src0_sel:DWORD src1_sel:WORD_1
	v_mul_f16_sdwa v146, v121, v5 dst_sel:DWORD dst_unused:UNUSED_PAD src0_sel:DWORD src1_sel:WORD_1
	v_mul_f16_sdwa v147, v51, v5 dst_sel:DWORD dst_unused:UNUSED_PAD src0_sel:DWORD src1_sel:WORD_1
	v_mul_f16_sdwa v148, v122, v6 dst_sel:DWORD dst_unused:UNUSED_PAD src0_sel:DWORD src1_sel:WORD_1
	v_mul_f16_sdwa v149, v109, v6 dst_sel:DWORD dst_unused:UNUSED_PAD src0_sel:DWORD src1_sel:WORD_1
	v_mul_f16_sdwa v150, v123, v7 dst_sel:DWORD dst_unused:UNUSED_PAD src0_sel:DWORD src1_sel:WORD_1
	v_mul_f16_sdwa v151, v55, v7 dst_sel:DWORD dst_unused:UNUSED_PAD src0_sel:DWORD src1_sel:WORD_1
	s_waitcnt vmcnt(2)
	v_mul_f16_sdwa v152, v124, v37 dst_sel:DWORD dst_unused:UNUSED_PAD src0_sel:DWORD src1_sel:WORD_1
	v_mul_f16_sdwa v153, v111, v37 dst_sel:DWORD dst_unused:UNUSED_PAD src0_sel:DWORD src1_sel:WORD_1
	v_mul_f16_sdwa v154, v125, v38 dst_sel:DWORD dst_unused:UNUSED_PAD src0_sel:DWORD src1_sel:WORD_1
	v_mul_f16_sdwa v155, v61, v38 dst_sel:DWORD dst_unused:UNUSED_PAD src0_sel:DWORD src1_sel:WORD_1
	s_waitcnt vmcnt(1)
	v_mul_f16_sdwa v156, v126, v0 dst_sel:DWORD dst_unused:UNUSED_PAD src0_sel:DWORD src1_sel:WORD_1
	v_mul_f16_sdwa v157, v63, v0 dst_sel:DWORD dst_unused:UNUSED_PAD src0_sel:DWORD src1_sel:WORD_1
	;; [unrolled: 1-line block ×4, first 2 shown]
	s_waitcnt vmcnt(0)
	v_mul_f16_sdwa v164, v130, v35 dst_sel:DWORD dst_unused:UNUSED_PAD src0_sel:DWORD src1_sel:WORD_1
	v_mul_f16_sdwa v165, v112, v35 dst_sel:DWORD dst_unused:UNUSED_PAD src0_sel:DWORD src1_sel:WORD_1
	;; [unrolled: 1-line block ×8, first 2 shown]
	v_fma_f16 v45, v45, v8, -v132
	v_fmac_f16_e32 v133, v113, v8
	v_fma_f16 v50, v50, v9, -v134
	v_fmac_f16_e32 v135, v114, v9
	;; [unrolled: 2-line block ×18, first 2 shown]
	v_add_f16_e32 v113, v45, v60
	v_add_f16_e32 v114, v133, v143
	;; [unrolled: 1-line block ×4, first 2 shown]
	v_sub_f16_e32 v45, v45, v60
	v_sub_f16_e32 v60, v133, v143
	;; [unrolled: 1-line block ×4, first 2 shown]
	v_add_f16_e32 v118, v53, v54
	v_add_f16_e32 v119, v137, v139
	v_sub_f16_e32 v53, v54, v53
	v_sub_f16_e32 v54, v139, v137
	v_add_f16_e32 v120, v62, v61
	v_add_f16_e32 v121, v145, v155
	v_sub_f16_e32 v61, v62, v61
	v_sub_f16_e32 v62, v145, v155
	;; [unrolled: 4-line block ×4, first 2 shown]
	v_add_f16_e32 v126, v63, v58
	v_add_f16_e32 v127, v157, v167
	;; [unrolled: 1-line block ×4, first 2 shown]
	v_sub_f16_e32 v58, v63, v58
	v_sub_f16_e32 v63, v157, v167
	;; [unrolled: 1-line block ×4, first 2 shown]
	v_add_f16_e32 v130, v110, v56
	v_sub_f16_e32 v56, v56, v110
	v_sub_f16_e32 v110, v163, v161
	v_add_f16_e32 v132, v116, v113
	v_add_f16_e32 v133, v117, v114
	;; [unrolled: 1-line block ×3, first 2 shown]
	v_sub_f16_e32 v134, v116, v113
	v_sub_f16_e32 v135, v117, v114
	;; [unrolled: 1-line block ×6, first 2 shown]
	v_add_f16_e32 v136, v53, v50
	v_add_f16_e32 v137, v54, v57
	v_sub_f16_e32 v138, v53, v50
	v_sub_f16_e32 v139, v54, v57
	v_sub_f16_e32 v50, v50, v45
	v_sub_f16_e32 v57, v57, v60
	v_add_f16_e32 v140, v122, v120
	v_add_f16_e32 v141, v123, v121
	v_sub_f16_e32 v142, v122, v120
	v_sub_f16_e32 v143, v123, v121
	v_sub_f16_e32 v122, v124, v122
	v_sub_f16_e32 v123, v125, v123
	v_add_f16_e32 v144, v55, v51
	v_add_f16_e32 v145, v109, v111
	v_sub_f16_e32 v146, v55, v51
	v_sub_f16_e32 v147, v109, v111
	v_sub_f16_e32 v51, v51, v61
	v_sub_f16_e32 v111, v111, v62
	v_add_f16_e32 v148, v128, v126
	v_add_f16_e32 v149, v129, v127
	;; [unrolled: 1-line block ×4, first 2 shown]
	v_sub_f16_e32 v154, v56, v52
	v_sub_f16_e32 v155, v110, v112
	;; [unrolled: 1-line block ×4, first 2 shown]
	v_add_f16_e32 v118, v118, v132
	v_add_f16_e32 v119, v119, v133
	v_sub_f16_e32 v53, v45, v53
	v_sub_f16_e32 v54, v60, v54
	;; [unrolled: 1-line block ×12, first 2 shown]
	v_add_f16_e32 v45, v136, v45
	v_add_f16_e32 v60, v137, v60
	v_mul_f16_e32 v113, 0x3a52, v113
	v_mul_f16_e32 v114, 0x3a52, v114
	;; [unrolled: 1-line block ×8, first 2 shown]
	v_add_f16_e32 v124, v124, v140
	v_add_f16_e32 v125, v125, v141
	;; [unrolled: 1-line block ×4, first 2 shown]
	v_mul_f16_e32 v140, 0x2b26, v122
	v_mul_f16_e32 v141, 0x2b26, v123
	v_mul_f16_e32 v144, 0xb846, v146
	v_mul_f16_e32 v145, 0xb846, v147
	v_mul_f16_e32 v146, 0x3b00, v51
	v_mul_f16_e32 v147, 0x3b00, v111
	v_add_f16_e32 v130, v130, v148
	v_add_f16_e32 v131, v131, v149
	v_sub_f16_e32 v56, v58, v56
	v_sub_f16_e32 v110, v63, v110
	v_add_f16_e32 v58, v152, v58
	v_add_f16_e32 v63, v153, v63
	v_mul_f16_e32 v152, 0xb846, v154
	v_mul_f16_e32 v153, 0xb846, v155
	v_mul_f16_e32 v154, 0x3b00, v52
	v_mul_f16_e32 v155, 0x3b00, v112
	s_waitcnt lgkmcnt(0)
	v_add_f16_e32 v156, v47, v118
	v_add_f16_sdwa v47, v47, v119 dst_sel:DWORD dst_unused:UNUSED_PAD src0_sel:WORD_1 src1_sel:DWORD
	v_mul_f16_e32 v120, 0x3a52, v120
	v_mul_f16_e32 v121, 0x3a52, v121
	;; [unrolled: 1-line block ×6, first 2 shown]
	v_fmamk_f16 v116, v116, 0x2b26, v113
	v_fmamk_f16 v117, v117, 0x2b26, v114
	v_fma_f16 v132, v134, 0x39e0, -v132
	v_fma_f16 v133, v135, 0x39e0, -v133
	;; [unrolled: 1-line block ×4, first 2 shown]
	v_fmamk_f16 v134, v53, 0x3574, v136
	v_fmamk_f16 v135, v54, 0x3574, v137
	v_fma_f16 v50, v50, 0x3b00, -v136
	v_fma_f16 v57, v57, 0x3b00, -v137
	v_fma_f16 v53, v53, 0xb574, -v138
	v_fma_f16 v54, v54, 0xb574, -v139
	v_add_f16_e32 v136, v48, v124
	v_add_f16_sdwa v48, v48, v125 dst_sel:DWORD dst_unused:UNUSED_PAD src0_sel:WORD_1 src1_sel:DWORD
	v_fma_f16 v137, v142, 0x39e0, -v140
	v_fma_f16 v138, v143, 0x39e0, -v141
	v_fmamk_f16 v139, v55, 0x3574, v144
	v_fmamk_f16 v140, v109, 0x3574, v145
	v_fma_f16 v51, v51, 0x3b00, -v144
	v_fma_f16 v111, v111, 0x3b00, -v145
	;; [unrolled: 1-line block ×4, first 2 shown]
	v_add_f16_e32 v141, v44, v130
	v_add_f16_sdwa v44, v44, v131 dst_sel:DWORD dst_unused:UNUSED_PAD src0_sel:WORD_1 src1_sel:DWORD
	v_fmamk_f16 v144, v56, 0x3574, v152
	v_fmamk_f16 v145, v110, 0x3574, v153
	v_fma_f16 v52, v52, 0x3b00, -v152
	v_fma_f16 v112, v112, 0x3b00, -v153
	;; [unrolled: 1-line block ×4, first 2 shown]
	v_fmamk_f16 v110, v118, 0xbcab, v156
	v_fmamk_f16 v118, v119, 0xbcab, v47
	;; [unrolled: 1-line block ×4, first 2 shown]
	v_fma_f16 v120, v142, 0xb9e0, -v120
	v_fma_f16 v121, v143, 0xb9e0, -v121
	v_fmamk_f16 v128, v128, 0x2b26, v126
	v_fmamk_f16 v129, v129, 0x2b26, v127
	v_fma_f16 v142, v150, 0x39e0, -v148
	v_fma_f16 v143, v151, 0x39e0, -v149
	;; [unrolled: 1-line block ×4, first 2 shown]
	v_fmac_f16_e32 v134, 0x370e, v45
	v_fmac_f16_e32 v135, 0x370e, v60
	;; [unrolled: 1-line block ×6, first 2 shown]
	v_fmamk_f16 v45, v124, 0xbcab, v136
	v_fmamk_f16 v60, v125, 0xbcab, v48
	v_fmac_f16_e32 v139, 0x370e, v61
	v_fmac_f16_e32 v140, 0x370e, v62
	;; [unrolled: 1-line block ×6, first 2 shown]
	v_fmamk_f16 v61, v130, 0xbcab, v141
	v_fmamk_f16 v62, v131, 0xbcab, v44
	v_fmac_f16_e32 v144, 0x370e, v58
	v_fmac_f16_e32 v145, 0x370e, v63
	;; [unrolled: 1-line block ×6, first 2 shown]
	v_pack_b32_f16 v58, v156, v47
	v_pack_b32_f16 v63, v136, v48
	v_add_f16_e32 v47, v116, v110
	v_add_f16_e32 v48, v117, v118
	;; [unrolled: 1-line block ×19, first 2 shown]
	v_sub_f16_e32 v126, v48, v134
	v_add_f16_e32 v127, v54, v110
	v_sub_f16_e32 v128, v113, v53
	v_sub_f16_e32 v129, v116, v57
	v_add_f16_e32 v130, v50, v117
	v_add_f16_e32 v57, v57, v116
	v_sub_f16_e32 v50, v117, v50
	v_sub_f16_e32 v54, v110, v54
	v_add_f16_e32 v53, v53, v113
	v_sub_f16_e32 v116, v47, v135
	v_add_f16_e32 v117, v134, v48
	v_add_f16_e32 v131, v140, v114
	;; [unrolled: 1-line block ×3, first 2 shown]
	v_sub_f16_e32 v134, v60, v55
	v_add_f16_e32 v136, v51, v122
	v_sub_f16_e32 v51, v122, v51
	v_sub_f16_e32 v109, v45, v109
	v_add_f16_e32 v55, v55, v60
	v_sub_f16_e32 v60, v114, v140
	v_add_f16_e32 v122, v145, v120
	v_sub_f16_e32 v137, v121, v144
	v_sub_f16_e32 v48, v61, v146
	v_add_f16_e32 v114, v56, v62
	;; [unrolled: 5-line block ×3, first 2 shown]
	v_add_f16_e32 v118, v139, v118
	v_add_f16_e32 v138, v146, v61
	v_sub_f16_e32 v139, v62, v56
	v_sub_f16_e32 v110, v123, v112
	v_add_f16_e32 v111, v52, v124
	v_add_f16_e32 v47, v112, v123
	v_sub_f16_e32 v112, v124, v52
	v_pack_b32_f16 v52, v125, v126
	v_pack_b32_f16 v56, v127, v128
	v_pack_b32_f16 v61, v129, v130
	v_pack_b32_f16 v50, v57, v50
	v_pack_b32_f16 v53, v54, v53
	v_pack_b32_f16 v54, v116, v117
	v_pack_b32_f16 v44, v141, v44
	v_pack_b32_f16 v55, v109, v55
	v_pack_b32_f16 v109, v122, v137
	v_pack_b32_f16 v120, v48, v114
	v_pack_b32_f16 v121, v45, v113
	v_pack_b32_f16 v57, v131, v132
	v_pack_b32_f16 v62, v133, v134
	v_pack_b32_f16 v116, v135, v136
	v_pack_b32_f16 v51, v119, v51
	v_pack_b32_f16 v60, v60, v118
	v_pack_b32_f16 v117, v138, v139
	v_pack_b32_f16 v118, v110, v111
	v_pack_b32_f16 v119, v47, v112
	ds_write2_b32 v65, v52, v56 offset0:51 offset1:102
	ds_write2_b32 v65, v61, v50 offset0:153 offset1:204
	;; [unrolled: 1-line block ×3, first 2 shown]
	ds_write2_b32 v65, v58, v63 offset1:17
	ds_write_b32 v65, v44 offset:136
	ds_write2_b32 v115, v57, v109 offset0:68 offset1:85
	ds_write2_b32 v115, v62, v117 offset0:119 offset1:136
	;; [unrolled: 1-line block ×6, first 2 shown]
	s_waitcnt lgkmcnt(0)
	s_barrier
	buffer_gl0_inv
	s_clause 0x10
	global_load_dword v44, v[12:13], off offset:1428
	global_load_dword v58, v49, s[0:1] offset:84
	global_load_dword v64, v49, s[0:1] offset:168
	;; [unrolled: 1-line block ×16, first 2 shown]
	ds_read2_b32 v[50:51], v65 offset1:21
	ds_read2_b32 v[52:53], v65 offset0:42 offset1:63
	ds_read2_b32 v[54:55], v65 offset0:84 offset1:105
	ds_read2_b32 v[56:57], v65 offset0:126 offset1:147
	ds_read2_b32 v[60:61], v65 offset0:168 offset1:189
	ds_read2_b32 v[62:63], v65 offset0:210 offset1:231
	ds_read2_b32 v[116:117], v59 offset0:124 offset1:145
	ds_read2_b32 v[118:119], v41 offset0:38 offset1:59
	ds_read_b32 v133, v65 offset:1344
	s_waitcnt lgkmcnt(8)
	v_lshrrev_b32_e32 v134, 16, v50
	v_lshrrev_b32_e32 v135, 16, v51
	s_waitcnt lgkmcnt(7)
	v_lshrrev_b32_e32 v136, 16, v52
	v_lshrrev_b32_e32 v137, 16, v53
	s_waitcnt lgkmcnt(6)
	v_lshrrev_b32_e32 v138, 16, v54
	v_lshrrev_b32_e32 v139, 16, v55
	s_waitcnt lgkmcnt(5)
	v_lshrrev_b32_e32 v140, 16, v56
	v_lshrrev_b32_e32 v141, 16, v57
	s_waitcnt lgkmcnt(4)
	v_lshrrev_b32_e32 v142, 16, v60
	v_lshrrev_b32_e32 v143, 16, v61
	s_waitcnt lgkmcnt(3)
	v_lshrrev_b32_e32 v144, 16, v62
	v_lshrrev_b32_e32 v145, 16, v63
	s_waitcnt lgkmcnt(2)
	v_lshrrev_b32_e32 v146, 16, v116
	v_lshrrev_b32_e32 v147, 16, v117
	s_waitcnt lgkmcnt(1)
	v_lshrrev_b32_e32 v148, 16, v118
	v_lshrrev_b32_e32 v149, 16, v119
	s_waitcnt lgkmcnt(0)
	v_lshrrev_b32_e32 v150, 16, v133
	s_waitcnt vmcnt(16)
	v_mul_f16_sdwa v151, v134, v44 dst_sel:DWORD dst_unused:UNUSED_PAD src0_sel:DWORD src1_sel:WORD_1
	v_mul_f16_sdwa v152, v50, v44 dst_sel:DWORD dst_unused:UNUSED_PAD src0_sel:DWORD src1_sel:WORD_1
	s_waitcnt vmcnt(15)
	v_mul_f16_sdwa v153, v135, v58 dst_sel:DWORD dst_unused:UNUSED_PAD src0_sel:DWORD src1_sel:WORD_1
	v_mul_f16_sdwa v154, v51, v58 dst_sel:DWORD dst_unused:UNUSED_PAD src0_sel:DWORD src1_sel:WORD_1
	;; [unrolled: 3-line block ×17, first 2 shown]
	v_fma_f16 v50, v50, v44, -v151
	v_fmac_f16_e32 v152, v134, v44
	v_fma_f16 v44, v51, v58, -v153
	v_fmac_f16_e32 v154, v135, v58
	;; [unrolled: 2-line block ×17, first 2 shown]
	v_pack_b32_f16 v50, v50, v152
	v_pack_b32_f16 v44, v44, v154
	;; [unrolled: 1-line block ×17, first 2 shown]
	ds_write2_b32 v65, v50, v44 offset1:21
	ds_write2_b32 v65, v51, v52 offset0:42 offset1:63
	ds_write2_b32 v65, v53, v54 offset0:84 offset1:105
	;; [unrolled: 1-line block ×7, first 2 shown]
	ds_write_b32 v65, v116 offset:1344
	s_and_saveexec_b32 s2, vcc_lo
	s_cbranch_execz .LBB0_9
; %bb.8:
	v_add_co_u32 v49, s0, s0, v49
	v_add_co_ci_u32_e64 v50, null, s1, 0, s0
	s_clause 0x10
	global_load_dword v44, v[49:50], off offset:68
	global_load_dword v64, v[49:50], off offset:152
	;; [unrolled: 1-line block ×17, first 2 shown]
	ds_read2_b32 v[49:50], v65 offset0:17 offset1:38
	ds_read2_b32 v[51:52], v65 offset0:59 offset1:80
	;; [unrolled: 1-line block ×8, first 2 shown]
	ds_read_b32 v132, v65 offset:1412
	s_waitcnt lgkmcnt(8)
	v_lshrrev_b32_e32 v133, 16, v49
	v_lshrrev_b32_e32 v134, 16, v50
	s_waitcnt lgkmcnt(7)
	v_lshrrev_b32_e32 v135, 16, v51
	v_lshrrev_b32_e32 v136, 16, v52
	;; [unrolled: 3-line block ×8, first 2 shown]
	s_waitcnt lgkmcnt(0)
	v_lshrrev_b32_e32 v149, 16, v132
	s_waitcnt vmcnt(16)
	v_mul_f16_sdwa v150, v133, v44 dst_sel:DWORD dst_unused:UNUSED_PAD src0_sel:DWORD src1_sel:WORD_1
	v_mul_f16_sdwa v151, v49, v44 dst_sel:DWORD dst_unused:UNUSED_PAD src0_sel:DWORD src1_sel:WORD_1
	s_waitcnt vmcnt(15)
	v_mul_f16_sdwa v152, v134, v64 dst_sel:DWORD dst_unused:UNUSED_PAD src0_sel:DWORD src1_sel:WORD_1
	v_mul_f16_sdwa v153, v50, v64 dst_sel:DWORD dst_unused:UNUSED_PAD src0_sel:DWORD src1_sel:WORD_1
	;; [unrolled: 3-line block ×17, first 2 shown]
	v_fma_f16 v49, v49, v44, -v150
	v_fmac_f16_e32 v151, v133, v44
	v_fma_f16 v44, v50, v64, -v152
	v_fmac_f16_e32 v153, v134, v64
	;; [unrolled: 2-line block ×17, first 2 shown]
	v_pack_b32_f16 v49, v49, v151
	v_pack_b32_f16 v44, v44, v153
	;; [unrolled: 1-line block ×17, first 2 shown]
	ds_write2_b32 v65, v49, v44 offset0:17 offset1:38
	ds_write2_b32 v65, v50, v51 offset0:59 offset1:80
	ds_write2_b32 v65, v52, v53 offset0:101 offset1:122
	ds_write2_b32 v65, v54, v55 offset0:143 offset1:164
	ds_write2_b32 v65, v56, v57 offset0:185 offset1:206
	ds_write2_b32 v65, v58, v60 offset0:227 offset1:248
	ds_write2_b32 v41, v61, v62 offset0:13 offset1:34
	ds_write2_b32 v41, v63, v64 offset0:55 offset1:76
	ds_write_b32 v65, v109 offset:1412
.LBB0_9:
	s_or_b32 exec_lo, exec_lo, s2
	s_waitcnt lgkmcnt(0)
	s_barrier
	buffer_gl0_inv
	ds_read2_b32 v[49:50], v65 offset1:21
	ds_read2_b32 v[61:62], v65 offset0:42 offset1:63
	ds_read2_b32 v[57:58], v65 offset0:84 offset1:105
	;; [unrolled: 1-line block ×7, first 2 shown]
	ds_read_b32 v122, v65 offset:1344
	v_lshrrev_b32_e32 v41, 16, v108
	s_and_saveexec_b32 s0, vcc_lo
	s_cbranch_execz .LBB0_11
; %bb.10:
	v_lshl_add_u32 v15, v84, 2, v88
	ds_read_b32 v110, v65 offset:68
	ds_read2_b32 v[47:48], v15 offset0:38 offset1:59
	ds_read2_b32 v[45:46], v15 offset0:80 offset1:101
	;; [unrolled: 1-line block ×3, first 2 shown]
	v_add_nc_u32_e32 v16, 0x200, v15
	v_add_nc_u32_e32 v96, 0x400, v15
	ds_read2_b32 v[43:44], v15 offset0:164 offset1:185
	ds_read2_b32 v[41:42], v15 offset0:206 offset1:227
	;; [unrolled: 1-line block ×5, first 2 shown]
	s_waitcnt lgkmcnt(8)
	v_lshrrev_b32_e32 v111, 16, v110
	s_waitcnt lgkmcnt(7)
	v_lshrrev_b32_e32 v112, 16, v47
	v_lshrrev_b32_e32 v114, 16, v48
	s_waitcnt lgkmcnt(6)
	v_lshrrev_b32_e32 v113, 16, v45
	;; [unrolled: 3-line block ×8, first 2 shown]
	v_bfi_b32 v105, 0xffff, v44, v16
.LBB0_11:
	s_or_b32 exec_lo, exec_lo, s0
	s_waitcnt lgkmcnt(8)
	v_pk_add_f16 v116, v49, v50
	v_add_nc_u32_e32 v109, 0x44, v115
	v_add_nc_u32_e32 v44, 0x88, v115
	s_waitcnt lgkmcnt(0)
	v_pk_add_f16 v117, v122, v50
	v_pk_add_f16 v115, v50, v122 neg_lo:[0,1] neg_hi:[0,1]
	v_pk_add_f16 v116, v116, v61
	v_mov_b32_e32 v133, 0xb964
	v_mov_b32_e32 v121, 0x39e9
	v_mov_b32_e32 v125, 0xba62
	v_mov_b32_e32 v124, 0xb8d2
	v_pk_add_f16 v50, v116, v62
	v_mul_f16_sdwa v123, v115, v133 dst_sel:DWORD dst_unused:UNUSED_PAD src0_sel:WORD_1 src1_sel:DWORD
	v_pk_mul_f16 v116, 0xb5c8, v115 op_sel_hi:[0,1]
	v_mul_f16_sdwa v126, v117, v121 dst_sel:DWORD dst_unused:UNUSED_PAD src0_sel:WORD_1 src1_sel:DWORD
	v_mul_f16_sdwa v136, v115, v125 dst_sel:DWORD dst_unused:UNUSED_PAD src0_sel:WORD_1 src1_sel:DWORD
	v_pk_add_f16 v50, v50, v57
	v_fmamk_f16 v139, v117, 0x39e9, v123
	v_fma_f16 v123, v117, 0x39e9, -v123
	v_mul_f16_sdwa v137, v117, v124 dst_sel:DWORD dst_unused:UNUSED_PAD src0_sel:WORD_1 src1_sel:DWORD
	v_fmamk_f16 v140, v115, 0x3964, v126
	v_pk_add_f16 v50, v50, v58
	v_fmac_f16_e32 v126, 0xb964, v115
	v_add_f16_e32 v149, v49, v123
	v_mov_b32_e32 v132, 0xbbf7
	v_mov_b32_e32 v131, 0x2de8
	v_pk_add_f16 v50, v50, v53
	v_add_f16_sdwa v150, v49, v126 dst_sel:DWORD dst_unused:UNUSED_PAD src0_sel:WORD_1 src1_sel:DWORD
	v_fmamk_f16 v126, v115, 0x3a62, v137
	v_mov_b32_e32 v141, 0xbb29
	v_mov_b32_e32 v118, 0x3722
	v_pk_add_f16 v50, v50, v54
	v_add_f16_e32 v139, v49, v139
	v_add_f16_sdwa v153, v49, v126 dst_sel:DWORD dst_unused:UNUSED_PAD src0_sel:WORD_1 src1_sel:DWORD
	v_pk_add_f16 v126, v64, v61
	v_mul_f16_sdwa v127, v115, v141 dst_sel:DWORD dst_unused:UNUSED_PAD src0_sel:WORD_1 src1_sel:DWORD
	v_pk_add_f16 v138, v50, v51
	v_pk_fma_f16 v50, 0x3b76, v117, v116 op_sel:[0,0,1] op_sel_hi:[0,1,0]
	v_pk_fma_f16 v116, 0x3b76, v117, v116 op_sel:[0,0,1] op_sel_hi:[0,1,0] neg_lo:[0,0,1] neg_hi:[0,0,1]
	v_mul_f16_sdwa v159, v126, v131 dst_sel:DWORD dst_unused:UNUSED_PAD src0_sel:WORD_1 src1_sel:DWORD
	v_mul_f16_sdwa v128, v117, v118 dst_sel:DWORD dst_unused:UNUSED_PAD src0_sel:WORD_1 src1_sel:DWORD
	v_pk_add_f16 v138, v138, v52
	v_add_f16_sdwa v140, v49, v140 dst_sel:DWORD dst_unused:UNUSED_PAD src0_sel:WORD_1 src1_sel:DWORD
	v_bfi_b32 v148, 0xffff, v50, v116
	v_fmamk_f16 v142, v117, 0x3722, v127
	v_fmamk_f16 v143, v115, 0x3b29, v128
	v_pk_add_f16 v138, v138, v55
	v_fma_f16 v127, v117, 0x3722, -v127
	v_mov_b32_e32 v119, 0xbbb2
	v_mul_f16_sdwa v129, v115, v132 dst_sel:DWORD dst_unused:UNUSED_PAD src0_sel:WORD_1 src1_sel:DWORD
	v_mul_f16_sdwa v130, v117, v131 dst_sel:DWORD dst_unused:UNUSED_PAD src0_sel:WORD_1 src1_sel:DWORD
	v_pk_add_f16 v138, v138, v56
	v_fmac_f16_e32 v128, 0xbb29, v115
	v_add_f16_e32 v142, v49, v142
	v_add_f16_sdwa v143, v49, v143 dst_sel:DWORD dst_unused:UNUSED_PAD src0_sel:WORD_1 src1_sel:DWORD
	v_add_f16_e32 v151, v49, v127
	v_pk_add_f16 v138, v138, v59
	v_mov_b32_e32 v120, 0xb461
	v_mul_f16_sdwa v134, v115, v119 dst_sel:DWORD dst_unused:UNUSED_PAD src0_sel:WORD_1 src1_sel:DWORD
	v_fmamk_f16 v144, v117, 0x2de8, v129
	v_fmamk_f16 v145, v115, 0x3bf7, v130
	v_pk_add_f16 v138, v138, v60
	v_fma_f16 v129, v117, 0x2de8, -v129
	v_add_f16_sdwa v152, v49, v128 dst_sel:DWORD dst_unused:UNUSED_PAD src0_sel:WORD_1 src1_sel:DWORD
	v_mul_f16_sdwa v135, v117, v120 dst_sel:DWORD dst_unused:UNUSED_PAD src0_sel:WORD_1 src1_sel:DWORD
	v_fmac_f16_e32 v130, 0xbbf7, v115
	v_pk_add_f16 v123, v138, v63
	v_pk_add_f16 v138, v49, v148
	v_fmamk_f16 v146, v117, 0xb461, v134
	v_add_f16_e32 v144, v49, v144
	v_add_f16_sdwa v145, v49, v145 dst_sel:DWORD dst_unused:UNUSED_PAD src0_sel:WORD_1 src1_sel:DWORD
	v_pk_add_f16 v123, v123, v64
	v_add_f16_e32 v129, v49, v129
	v_mov_b32_e32 v127, 0xbacd
	v_fmamk_f16 v147, v115, 0x3bb2, v135
	v_fma_f16 v134, v117, 0xb461, -v134
	v_pk_add_f16 v122, v123, v122
	v_fmamk_f16 v123, v117, 0xb8d2, v136
	v_fma_f16 v136, v117, 0xb8d2, -v136
	v_add_f16_sdwa v130, v49, v130 dst_sel:DWORD dst_unused:UNUSED_PAD src0_sel:WORD_1 src1_sel:DWORD
	v_add_f16_e32 v146, v49, v146
	v_add_f16_sdwa v147, v49, v147 dst_sel:DWORD dst_unused:UNUSED_PAD src0_sel:WORD_1 src1_sel:DWORD
	v_add_f16_e32 v148, v49, v123
	v_pk_add_f16 v123, v61, v64 neg_lo:[0,1] neg_hi:[0,1]
	v_add_f16_e32 v158, v49, v136
	v_add_f16_e32 v134, v49, v134
	v_fmac_f16_e32 v135, 0xbbb2, v115
	v_mov_b32_e32 v128, 0xb836
	v_pk_mul_f16 v64, 0xb964, v123 op_sel_hi:[0,1]
	v_mul_f16_sdwa v136, v123, v132 dst_sel:DWORD dst_unused:UNUSED_PAD src0_sel:WORD_1 src1_sel:DWORD
	v_fmamk_f16 v162, v123, 0x3bf7, v159
	v_fmac_f16_e32 v159, 0xbbf7, v123
	v_add_f16_sdwa v135, v49, v135 dst_sel:DWORD dst_unused:UNUSED_PAD src0_sel:WORD_1 src1_sel:DWORD
	v_pk_fma_f16 v61, 0x39e9, v126, v64 op_sel:[0,0,1] op_sel_hi:[0,1,0]
	v_pk_fma_f16 v64, 0x39e9, v126, v64 op_sel:[0,0,1] op_sel_hi:[0,1,0] neg_lo:[0,0,1] neg_hi:[0,0,1]
	v_fmamk_f16 v161, v126, 0x2de8, v136
	v_fma_f16 v136, v126, 0x2de8, -v136
	v_add_f16_e32 v140, v162, v140
	v_mul_f16_sdwa v162, v126, v124 dst_sel:DWORD dst_unused:UNUSED_PAD src0_sel:WORD_1 src1_sel:DWORD
	v_bfi_b32 v160, 0xffff, v61, v64
	v_add_f16_e32 v139, v161, v139
	v_mul_f16_sdwa v161, v123, v125 dst_sel:DWORD dst_unused:UNUSED_PAD src0_sel:WORD_1 src1_sel:DWORD
	v_add_f16_e32 v149, v136, v149
	v_mov_b32_e32 v136, 0xb1e1
	v_pk_add_f16 v160, v160, v138
	v_add_f16_e32 v150, v159, v150
	v_fmamk_f16 v163, v126, 0xb8d2, v161
	v_fmamk_f16 v159, v123, 0x3a62, v162
	v_mov_b32_e32 v138, 0xbbdd
	v_fma_f16 v161, v126, 0xb8d2, -v161
	v_fmac_f16_e32 v162, 0xba62, v123
	v_add_f16_e32 v142, v163, v142
	v_mul_f16_sdwa v163, v123, v136 dst_sel:DWORD dst_unused:UNUSED_PAD src0_sel:WORD_1 src1_sel:DWORD
	v_add_f16_e32 v143, v159, v143
	v_mul_f16_sdwa v159, v126, v138 dst_sel:DWORD dst_unused:UNUSED_PAD src0_sel:WORD_1 src1_sel:DWORD
	v_add_f16_e32 v151, v161, v151
	v_mov_b32_e32 v161, 0x3836
	v_fmamk_f16 v164, v126, 0xbbdd, v163
	v_add_f16_e32 v152, v162, v152
	v_fmamk_f16 v165, v123, 0x31e1, v159
	v_fma_f16 v162, v126, 0xbbdd, -v163
	v_mul_f16_sdwa v163, v123, v161 dst_sel:DWORD dst_unused:UNUSED_PAD src0_sel:WORD_1 src1_sel:DWORD
	v_add_f16_e32 v144, v164, v144
	v_mul_f16_sdwa v164, v126, v127 dst_sel:DWORD dst_unused:UNUSED_PAD src0_sel:WORD_1 src1_sel:DWORD
	v_add_f16_e32 v145, v165, v145
	v_fmac_f16_e32 v159, 0xb1e1, v123
	v_add_f16_e32 v162, v162, v129
	v_fmamk_f16 v129, v126, 0xbacd, v163
	v_mov_b32_e32 v165, 0x3bb2
	v_fmamk_f16 v166, v123, 0xb836, v164
	v_add_f16_e32 v159, v159, v130
	v_fma_f16 v130, v126, 0xbacd, -v163
	v_add_f16_e32 v146, v129, v146
	v_mul_f16_sdwa v129, v123, v165 dst_sel:DWORD dst_unused:UNUSED_PAD src0_sel:WORD_1 src1_sel:DWORD
	v_mul_f16_sdwa v154, v115, v128 dst_sel:DWORD dst_unused:UNUSED_PAD src0_sel:WORD_1 src1_sel:DWORD
	v_add_f16_e32 v147, v166, v147
	v_mul_f16_sdwa v163, v126, v120 dst_sel:DWORD dst_unused:UNUSED_PAD src0_sel:WORD_1 src1_sel:DWORD
	v_add_f16_e32 v166, v130, v134
	v_fmac_f16_e32 v164, 0x3836, v123
	v_fmamk_f16 v130, v126, 0xb461, v129
	v_mov_b32_e32 v134, 0x3b29
	v_fma_f16 v129, v126, 0xb461, -v129
	v_mul_f16_sdwa v155, v117, v127 dst_sel:DWORD dst_unused:UNUSED_PAD src0_sel:WORD_1 src1_sel:DWORD
	v_fmac_f16_e32 v137, 0xba62, v115
	v_fmamk_f16 v156, v117, 0xbacd, v154
	v_fmamk_f16 v167, v123, 0xbbb2, v163
	v_add_f16_e32 v135, v164, v135
	v_mul_f16_sdwa v164, v123, v134 dst_sel:DWORD dst_unused:UNUSED_PAD src0_sel:WORD_1 src1_sel:DWORD
	v_add_f16_e32 v158, v129, v158
	v_pk_add_f16 v129, v62, v63 neg_lo:[0,1] neg_hi:[0,1]
	v_fmamk_f16 v157, v115, 0x3836, v155
	v_add_f16_sdwa v137, v49, v137 dst_sel:DWORD dst_unused:UNUSED_PAD src0_sel:WORD_1 src1_sel:DWORD
	v_add_f16_e32 v156, v49, v156
	v_fma_f16 v154, v117, 0xbacd, -v154
	v_add_f16_e32 v148, v130, v148
	v_add_f16_e32 v153, v167, v153
	v_fmac_f16_e32 v163, 0x3bb2, v123
	v_fmamk_f16 v167, v126, 0x3722, v164
	v_mul_f16_sdwa v168, v126, v118 dst_sel:DWORD dst_unused:UNUSED_PAD src0_sel:WORD_1 src1_sel:DWORD
	v_pk_add_f16 v130, v63, v62
	v_pk_mul_f16 v63, 0xbb29, v129 op_sel_hi:[0,1]
	v_add_f16_sdwa v157, v49, v157 dst_sel:DWORD dst_unused:UNUSED_PAD src0_sel:WORD_1 src1_sel:DWORD
	v_add_f16_e32 v154, v49, v154
	v_add_f16_e32 v163, v163, v137
	;; [unrolled: 1-line block ×3, first 2 shown]
	v_fmamk_f16 v137, v123, 0xbb29, v168
	v_fma_f16 v164, v126, 0x3722, -v164
	v_pk_fma_f16 v62, 0x3722, v130, v63 op_sel:[0,0,1] op_sel_hi:[0,1,0]
	v_pk_fma_f16 v63, 0x3722, v130, v63 op_sel:[0,0,1] op_sel_hi:[0,1,0] neg_lo:[0,0,1] neg_hi:[0,0,1]
	v_mul_f16_sdwa v167, v129, v125 dst_sel:DWORD dst_unused:UNUSED_PAD src0_sel:WORD_1 src1_sel:DWORD
	v_fmac_f16_e32 v155, 0xb836, v115
	v_add_f16_e32 v157, v137, v157
	v_add_f16_e32 v154, v164, v154
	v_bfi_b32 v137, 0xffff, v62, v63
	v_fmamk_f16 v164, v130, 0xb8d2, v167
	v_mul_f16_sdwa v169, v130, v124 dst_sel:DWORD dst_unused:UNUSED_PAD src0_sel:WORD_1 src1_sel:DWORD
	v_mov_b32_e32 v170, 0x31e1
	v_add_f16_sdwa v155, v49, v155 dst_sel:DWORD dst_unused:UNUSED_PAD src0_sel:WORD_1 src1_sel:DWORD
	v_fmac_f16_e32 v168, 0x3b29, v123
	v_pk_add_f16 v160, v137, v160
	v_add_f16_e32 v164, v164, v139
	v_fmamk_f16 v137, v129, 0x3a62, v169
	v_mul_f16_sdwa v139, v129, v170 dst_sel:DWORD dst_unused:UNUSED_PAD src0_sel:WORD_1 src1_sel:DWORD
	v_add_f16_e32 v155, v168, v155
	v_mul_f16_sdwa v168, v130, v138 dst_sel:DWORD dst_unused:UNUSED_PAD src0_sel:WORD_1 src1_sel:DWORD
	v_fmac_f16_e32 v169, 0xba62, v129
	v_add_f16_e32 v140, v137, v140
	v_fmamk_f16 v137, v130, 0xbbdd, v139
	v_fma_f16 v139, v130, 0xbbdd, -v139
	v_fma_f16 v167, v130, 0xb8d2, -v167
	v_fmamk_f16 v170, v129, 0xb1e1, v168
	v_add_f16_e32 v150, v169, v150
	v_add_f16_e32 v142, v137, v142
	v_mul_f16_sdwa v137, v129, v165 dst_sel:DWORD dst_unused:UNUSED_PAD src0_sel:WORD_1 src1_sel:DWORD
	v_mul_f16_sdwa v169, v130, v120 dst_sel:DWORD dst_unused:UNUSED_PAD src0_sel:WORD_1 src1_sel:DWORD
	v_add_f16_e32 v151, v139, v151
	v_fmac_f16_e32 v168, 0x31e1, v129
	v_mov_b32_e32 v139, 0x3964
	v_add_f16_e32 v149, v167, v149
	v_add_f16_e32 v167, v170, v143
	v_fmamk_f16 v143, v130, 0xb461, v137
	v_fmamk_f16 v170, v129, 0xbbb2, v169
	v_fma_f16 v137, v130, 0xb461, -v137
	v_add_f16_e32 v152, v168, v152
	v_mul_f16_sdwa v168, v129, v139 dst_sel:DWORD dst_unused:UNUSED_PAD src0_sel:WORD_1 src1_sel:DWORD
	v_mul_f16_sdwa v171, v130, v121 dst_sel:DWORD dst_unused:UNUSED_PAD src0_sel:WORD_1 src1_sel:DWORD
	v_add_f16_e32 v145, v170, v145
	v_add_f16_e32 v162, v137, v162
	v_mov_b32_e32 v170, 0xb5c8
	v_fmamk_f16 v137, v130, 0x39e9, v168
	v_add_f16_e32 v144, v143, v144
	v_fmac_f16_e32 v169, 0x3bb2, v129
	v_mov_b32_e32 v143, 0x3b76
	v_fmamk_f16 v172, v129, 0xb964, v171
	v_add_f16_e32 v146, v137, v146
	v_mul_f16_sdwa v137, v129, v170 dst_sel:DWORD dst_unused:UNUSED_PAD src0_sel:WORD_1 src1_sel:DWORD
	v_fma_f16 v168, v130, 0x39e9, -v168
	v_fmac_f16_e32 v171, 0x3964, v129
	v_add_f16_e32 v159, v169, v159
	v_mul_f16_sdwa v169, v130, v143 dst_sel:DWORD dst_unused:UNUSED_PAD src0_sel:WORD_1 src1_sel:DWORD
	v_fmamk_f16 v173, v130, 0x3b76, v137
	v_add_f16_e32 v166, v168, v166
	v_add_f16_e32 v168, v171, v135
	v_pk_add_f16 v135, v57, v60 neg_lo:[0,1] neg_hi:[0,1]
	v_fmamk_f16 v174, v129, 0x35c8, v169
	v_add_f16_e32 v148, v173, v148
	v_mul_f16_sdwa v171, v129, v132 dst_sel:DWORD dst_unused:UNUSED_PAD src0_sel:WORD_1 src1_sel:DWORD
	v_fma_f16 v173, v130, 0x3b76, -v137
	v_pk_add_f16 v137, v60, v57
	v_pk_mul_f16 v60, 0xbbf7, v135 op_sel_hi:[0,1]
	v_add_f16_e32 v147, v172, v147
	v_add_f16_e32 v153, v174, v153
	v_mul_f16_sdwa v172, v130, v131 dst_sel:DWORD dst_unused:UNUSED_PAD src0_sel:WORD_1 src1_sel:DWORD
	v_fmac_f16_e32 v169, 0xb5c8, v129
	v_fmamk_f16 v174, v130, 0x2de8, v171
	v_add_f16_e32 v158, v173, v158
	v_pk_fma_f16 v57, 0x2de8, v137, v60 op_sel:[0,0,1] op_sel_hi:[0,1,0]
	v_pk_fma_f16 v60, 0x2de8, v137, v60 op_sel:[0,0,1] op_sel_hi:[0,1,0] neg_lo:[0,0,1] neg_hi:[0,0,1]
	v_mul_f16_sdwa v173, v137, v138 dst_sel:DWORD dst_unused:UNUSED_PAD src0_sel:WORD_1 src1_sel:DWORD
	v_fmamk_f16 v175, v129, 0x3bf7, v172
	v_add_f16_e32 v163, v169, v163
	v_add_f16_e32 v156, v174, v156
	v_mul_f16_sdwa v169, v135, v136 dst_sel:DWORD dst_unused:UNUSED_PAD src0_sel:WORD_1 src1_sel:DWORD
	v_fma_f16 v171, v130, 0x2de8, -v171
	v_fmac_f16_e32 v172, 0xbbf7, v129
	v_bfi_b32 v174, 0xffff, v57, v60
	v_fmamk_f16 v176, v135, 0x31e1, v173
	v_add_f16_e32 v157, v175, v157
	v_fmamk_f16 v175, v137, 0xbbdd, v169
	v_add_f16_e32 v154, v171, v154
	v_add_f16_e32 v155, v172, v155
	v_pk_add_f16 v160, v174, v160
	v_add_f16_e32 v171, v176, v140
	v_mul_f16_sdwa v140, v135, v165 dst_sel:DWORD dst_unused:UNUSED_PAD src0_sel:WORD_1 src1_sel:DWORD
	v_fma_f16 v169, v137, 0xbbdd, -v169
	v_fmac_f16_e32 v173, 0xb1e1, v135
	v_mov_b32_e32 v172, 0x35c8
	v_mul_f16_sdwa v174, v137, v120 dst_sel:DWORD dst_unused:UNUSED_PAD src0_sel:WORD_1 src1_sel:DWORD
	v_add_f16_e32 v164, v175, v164
	v_fmamk_f16 v175, v137, 0xb461, v140
	v_add_f16_e32 v149, v169, v149
	v_add_f16_e32 v150, v173, v150
	v_mul_f16_sdwa v169, v135, v172 dst_sel:DWORD dst_unused:UNUSED_PAD src0_sel:WORD_1 src1_sel:DWORD
	v_fmamk_f16 v173, v135, 0xbbb2, v174
	v_add_f16_e32 v175, v175, v142
	v_fma_f16 v140, v137, 0xb461, -v140
	v_fmac_f16_e32 v174, 0x3bb2, v135
	v_fmamk_f16 v142, v137, 0x3b76, v169
	v_add_f16_e32 v167, v173, v167
	v_mul_f16_sdwa v173, v137, v143 dst_sel:DWORD dst_unused:UNUSED_PAD src0_sel:WORD_1 src1_sel:DWORD
	v_add_f16_e32 v151, v140, v151
	v_add_f16_e32 v152, v174, v152
	;; [unrolled: 1-line block ×3, first 2 shown]
	v_mul_f16_sdwa v140, v135, v141 dst_sel:DWORD dst_unused:UNUSED_PAD src0_sel:WORD_1 src1_sel:DWORD
	v_fmamk_f16 v142, v135, 0xb5c8, v173
	v_mul_f16_sdwa v174, v137, v118 dst_sel:DWORD dst_unused:UNUSED_PAD src0_sel:WORD_1 src1_sel:DWORD
	v_fma_f16 v169, v137, 0x3b76, -v169
	v_fmac_f16_e32 v173, 0x35c8, v135
	v_fmamk_f16 v176, v137, 0x3722, v140
	v_add_f16_e32 v145, v142, v145
	v_fmamk_f16 v142, v135, 0x3b29, v174
	v_add_f16_e32 v162, v169, v162
	v_mul_f16_sdwa v169, v135, v128 dst_sel:DWORD dst_unused:UNUSED_PAD src0_sel:WORD_1 src1_sel:DWORD
	v_fma_f16 v140, v137, 0x3722, -v140
	v_add_f16_e32 v159, v173, v159
	v_add_f16_e32 v146, v176, v146
	;; [unrolled: 1-line block ×3, first 2 shown]
	v_mul_f16_sdwa v173, v137, v127 dst_sel:DWORD dst_unused:UNUSED_PAD src0_sel:WORD_1 src1_sel:DWORD
	v_fmac_f16_e32 v174, 0xbb29, v135
	v_fmamk_f16 v142, v137, 0xbacd, v169
	v_mov_b32_e32 v176, 0x3a62
	v_add_f16_e32 v166, v140, v166
	v_pk_add_f16 v140, v58, v59 neg_lo:[0,1] neg_hi:[0,1]
	v_fmamk_f16 v177, v135, 0x3836, v173
	v_add_f16_e32 v168, v174, v168
	v_add_f16_e32 v148, v142, v148
	v_mul_f16_sdwa v174, v135, v176 dst_sel:DWORD dst_unused:UNUSED_PAD src0_sel:WORD_1 src1_sel:DWORD
	v_fma_f16 v169, v137, 0xbacd, -v169
	v_fmac_f16_e32 v173, 0xb836, v135
	v_mul_f16_sdwa v178, v137, v124 dst_sel:DWORD dst_unused:UNUSED_PAD src0_sel:WORD_1 src1_sel:DWORD
	v_pk_add_f16 v142, v59, v58
	v_pk_mul_f16 v59, 0xbbb2, v140 op_sel_hi:[0,1]
	v_add_f16_e32 v158, v169, v158
	v_add_f16_e32 v163, v173, v163
	v_fmamk_f16 v169, v135, 0xba62, v178
	v_fma_f16 v173, v137, 0xb8d2, -v174
	v_pk_fma_f16 v58, 0xb461, v142, v59 op_sel:[0,0,1] op_sel_hi:[0,1,0]
	v_pk_fma_f16 v59, 0xb461, v142, v59 op_sel:[0,0,1] op_sel_hi:[0,1,0] neg_lo:[0,0,1] neg_hi:[0,0,1]
	v_mul_f16_sdwa v161, v140, v161 dst_sel:DWORD dst_unused:UNUSED_PAD src0_sel:WORD_1 src1_sel:DWORD
	v_add_f16_e32 v153, v177, v153
	v_fmamk_f16 v177, v137, 0xb8d2, v174
	v_add_f16_e32 v157, v169, v157
	v_fmac_f16_e32 v178, 0x3a62, v135
	v_bfi_b32 v169, 0xffff, v58, v59
	v_add_f16_e32 v154, v173, v154
	v_fmamk_f16 v173, v142, 0xbacd, v161
	v_mul_f16_sdwa v174, v142, v127 dst_sel:DWORD dst_unused:UNUSED_PAD src0_sel:WORD_1 src1_sel:DWORD
	v_add_f16_e32 v155, v178, v155
	v_pk_add_f16 v160, v169, v160
	v_mul_f16_sdwa v169, v140, v139 dst_sel:DWORD dst_unused:UNUSED_PAD src0_sel:WORD_1 src1_sel:DWORD
	v_add_f16_e32 v164, v173, v164
	v_fmamk_f16 v173, v140, 0xb836, v174
	v_mul_f16_sdwa v178, v142, v121 dst_sel:DWORD dst_unused:UNUSED_PAD src0_sel:WORD_1 src1_sel:DWORD
	v_add_f16_e32 v156, v177, v156
	v_fmac_f16_e32 v174, 0x3836, v140
	v_fmamk_f16 v177, v142, 0x39e9, v169
	v_add_f16_e32 v171, v173, v171
	v_fmamk_f16 v173, v140, 0xb964, v178
	v_mul_f16_sdwa v141, v140, v141 dst_sel:DWORD dst_unused:UNUSED_PAD src0_sel:WORD_1 src1_sel:DWORD
	v_fma_f16 v169, v142, 0x39e9, -v169
	v_fma_f16 v161, v142, 0xbacd, -v161
	v_add_f16_e32 v150, v174, v150
	v_mul_f16_sdwa v174, v142, v118 dst_sel:DWORD dst_unused:UNUSED_PAD src0_sel:WORD_1 src1_sel:DWORD
	v_add_f16_e32 v167, v173, v167
	v_fmamk_f16 v173, v142, 0x3722, v141
	v_add_f16_e32 v151, v169, v151
	v_mul_f16_sdwa v169, v140, v136 dst_sel:DWORD dst_unused:UNUSED_PAD src0_sel:WORD_1 src1_sel:DWORD
	v_add_f16_e32 v149, v161, v149
	v_add_f16_e32 v161, v177, v175
	v_fmamk_f16 v175, v140, 0x3b29, v174
	v_add_f16_e32 v144, v173, v144
	v_fmac_f16_e32 v174, 0xbb29, v140
	v_fmamk_f16 v173, v142, 0xbbdd, v169
	v_mul_f16_sdwa v177, v142, v138 dst_sel:DWORD dst_unused:UNUSED_PAD src0_sel:WORD_1 src1_sel:DWORD
	v_add_f16_e32 v145, v175, v145
	v_fma_f16 v141, v142, 0x3722, -v141
	v_mov_b32_e32 v175, 0x3bf7
	v_add_f16_e32 v159, v174, v159
	v_add_f16_e32 v146, v173, v146
	v_fmamk_f16 v173, v140, 0x31e1, v177
	v_mul_f16_sdwa v174, v142, v131 dst_sel:DWORD dst_unused:UNUSED_PAD src0_sel:WORD_1 src1_sel:DWORD
	v_fmac_f16_e32 v178, 0x3964, v140
	v_add_f16_e32 v141, v141, v162
	v_mul_f16_sdwa v162, v140, v175 dst_sel:DWORD dst_unused:UNUSED_PAD src0_sel:WORD_1 src1_sel:DWORD
	v_add_f16_e32 v147, v173, v147
	v_fmamk_f16 v173, v140, 0xbbf7, v174
	v_add_f16_e32 v152, v178, v152
	v_fma_f16 v169, v142, 0xbbdd, -v169
	v_fmamk_f16 v178, v142, 0x2de8, v162
	v_fmac_f16_e32 v177, 0xb1e1, v140
	v_add_f16_e32 v153, v173, v153
	v_pk_add_f16 v173, v53, v56 neg_lo:[0,1] neg_hi:[0,1]
	v_add_f16_e32 v166, v169, v166
	v_add_f16_e32 v148, v178, v148
	v_mul_f16_sdwa v169, v140, v170 dst_sel:DWORD dst_unused:UNUSED_PAD src0_sel:WORD_1 src1_sel:DWORD
	v_fma_f16 v162, v142, 0x2de8, -v162
	v_fmac_f16_e32 v174, 0x3bf7, v140
	v_mul_f16_sdwa v178, v142, v143 dst_sel:DWORD dst_unused:UNUSED_PAD src0_sel:WORD_1 src1_sel:DWORD
	v_pk_add_f16 v53, v56, v53
	v_pk_mul_f16 v56, 0xba62, v173 op_sel_hi:[0,1]
	v_add_f16_e32 v168, v177, v168
	v_fmamk_f16 v177, v142, 0x3b76, v169
	v_add_f16_e32 v158, v162, v158
	v_add_f16_e32 v162, v174, v163
	v_fmamk_f16 v163, v140, 0x35c8, v178
	v_pk_fma_f16 v174, 0xb8d2, v53, v56 op_sel:[0,0,1] op_sel_hi:[0,1,0]
	v_pk_fma_f16 v56, 0xb8d2, v53, v56 op_sel:[0,0,1] op_sel_hi:[0,1,0] neg_lo:[0,0,1] neg_hi:[0,0,1]
	v_mul_f16_sdwa v165, v173, v165 dst_sel:DWORD dst_unused:UNUSED_PAD src0_sel:WORD_1 src1_sel:DWORD
	v_fmac_f16_e32 v178, 0xb5c8, v140
	v_add_f16_e32 v156, v177, v156
	v_fma_f16 v169, v142, 0x3b76, -v169
	v_add_f16_e32 v157, v163, v157
	v_bfi_b32 v163, 0xffff, v174, v56
	v_fmamk_f16 v177, v53, 0xb461, v165
	v_add_f16_e32 v155, v178, v155
	v_fma_f16 v165, v53, 0xb461, -v165
	v_mul_f16_sdwa v178, v53, v143 dst_sel:DWORD dst_unused:UNUSED_PAD src0_sel:WORD_1 src1_sel:DWORD
	v_add_f16_e32 v154, v169, v154
	v_mul_f16_sdwa v169, v53, v120 dst_sel:DWORD dst_unused:UNUSED_PAD src0_sel:WORD_1 src1_sel:DWORD
	v_pk_add_f16 v160, v163, v160
	v_add_f16_e32 v163, v177, v164
	v_mul_f16_sdwa v164, v173, v170 dst_sel:DWORD dst_unused:UNUSED_PAD src0_sel:WORD_1 src1_sel:DWORD
	v_add_f16_e32 v149, v165, v149
	v_fmamk_f16 v165, v173, 0x35c8, v178
	v_fmamk_f16 v177, v173, 0xbbb2, v169
	v_fmac_f16_e32 v169, 0x3bb2, v173
	v_fmamk_f16 v179, v53, 0x3b76, v164
	v_fma_f16 v164, v53, 0x3b76, -v164
	v_add_f16_e32 v165, v165, v167
	v_mul_f16_sdwa v167, v53, v127 dst_sel:DWORD dst_unused:UNUSED_PAD src0_sel:WORD_1 src1_sel:DWORD
	v_add_f16_e32 v150, v169, v150
	v_mul_f16_sdwa v169, v173, v128 dst_sel:DWORD dst_unused:UNUSED_PAD src0_sel:WORD_1 src1_sel:DWORD
	;; [unrolled: 2-line block ×3, first 2 shown]
	v_fmamk_f16 v175, v173, 0x3836, v167
	v_add_f16_e32 v171, v177, v171
	v_fmamk_f16 v177, v53, 0xbacd, v169
	v_fma_f16 v169, v53, 0xbacd, -v169
	v_fmac_f16_e32 v167, 0xb836, v173
	v_add_f16_e32 v145, v175, v145
	v_mul_f16_sdwa v175, v53, v131 dst_sel:DWORD dst_unused:UNUSED_PAD src0_sel:WORD_1 src1_sel:DWORD
	v_add_f16_e32 v144, v177, v144
	v_add_f16_e32 v141, v169, v141
	;; [unrolled: 1-line block ×3, first 2 shown]
	v_mul_f16_sdwa v169, v53, v121 dst_sel:DWORD dst_unused:UNUSED_PAD src0_sel:WORD_1 src1_sel:DWORD
	v_fmamk_f16 v167, v173, 0xbbf7, v175
	v_fmamk_f16 v177, v53, 0x2de8, v164
	v_mul_f16_sdwa v133, v173, v133 dst_sel:DWORD dst_unused:UNUSED_PAD src0_sel:WORD_1 src1_sel:DWORD
	v_fma_f16 v164, v53, 0x2de8, -v164
	v_fmac_f16_e32 v175, 0x3bf7, v173
	v_add_f16_e32 v147, v167, v147
	v_fmamk_f16 v167, v173, 0x3964, v169
	v_add_f16_e32 v146, v177, v146
	v_fmamk_f16 v177, v53, 0x39e9, v133
	v_add_f16_e32 v164, v164, v166
	v_add_f16_e32 v166, v175, v168
	v_mul_f16_sdwa v168, v173, v136 dst_sel:DWORD dst_unused:UNUSED_PAD src0_sel:WORD_1 src1_sel:DWORD
	v_add_f16_e32 v153, v167, v153
	v_pk_add_f16 v167, v54, v55 neg_lo:[0,1] neg_hi:[0,1]
	v_add_f16_e32 v148, v177, v148
	v_fma_f16 v133, v53, 0x39e9, -v133
	v_fmac_f16_e32 v169, 0xb964, v173
	v_fmamk_f16 v175, v53, 0xbbdd, v168
	v_mul_f16_sdwa v177, v53, v138 dst_sel:DWORD dst_unused:UNUSED_PAD src0_sel:WORD_1 src1_sel:DWORD
	v_pk_add_f16 v54, v55, v54
	v_pk_mul_f16 v55, 0xb836, v167 op_sel_hi:[0,1]
	v_fmac_f16_e32 v178, 0xb5c8, v173
	v_add_f16_e32 v133, v133, v158
	v_add_f16_e32 v158, v169, v162
	;; [unrolled: 1-line block ×3, first 2 shown]
	v_fmamk_f16 v162, v173, 0x31e1, v177
	v_pk_fma_f16 v169, 0xbacd, v54, v55 op_sel:[0,0,1] op_sel_hi:[0,1,0]
	v_pk_fma_f16 v55, 0xbacd, v54, v55 op_sel:[0,0,1] op_sel_hi:[0,1,0] neg_lo:[0,0,1] neg_hi:[0,0,1]
	v_mul_f16_sdwa v175, v167, v134 dst_sel:DWORD dst_unused:UNUSED_PAD src0_sel:WORD_1 src1_sel:DWORD
	v_fma_f16 v168, v53, 0xbbdd, -v168
	v_add_f16_e32 v152, v178, v152
	v_add_f16_e32 v157, v162, v157
	v_bfi_b32 v162, 0xffff, v169, v55
	v_fmamk_f16 v178, v54, 0x3722, v175
	v_add_f16_e32 v154, v168, v154
	v_mul_f16_sdwa v168, v54, v118 dst_sel:DWORD dst_unused:UNUSED_PAD src0_sel:WORD_1 src1_sel:DWORD
	v_mul_f16_sdwa v131, v54, v131 dst_sel:DWORD dst_unused:UNUSED_PAD src0_sel:WORD_1 src1_sel:DWORD
	v_pk_add_f16 v160, v162, v160
	v_add_f16_e32 v162, v178, v163
	v_fmac_f16_e32 v177, 0xb1e1, v173
	v_fmamk_f16 v163, v167, 0xbb29, v168
	v_fmac_f16_e32 v168, 0x3b29, v167
	v_mul_f16_sdwa v132, v167, v132 dst_sel:DWORD dst_unused:UNUSED_PAD src0_sel:WORD_1 src1_sel:DWORD
	v_fma_f16 v175, v54, 0x3722, -v175
	v_add_f16_e32 v155, v177, v155
	v_add_f16_e32 v163, v163, v171
	;; [unrolled: 1-line block ×3, first 2 shown]
	v_fmamk_f16 v168, v167, 0x3bf7, v131
	v_fmac_f16_e32 v131, 0xbbf7, v167
	v_fmamk_f16 v177, v54, 0x2de8, v132
	v_fma_f16 v132, v54, 0x2de8, -v132
	v_mul_f16_sdwa v171, v167, v176 dst_sel:DWORD dst_unused:UNUSED_PAD src0_sel:WORD_1 src1_sel:DWORD
	v_add_f16_e32 v165, v168, v165
	v_mul_f16_sdwa v168, v54, v124 dst_sel:DWORD dst_unused:UNUSED_PAD src0_sel:WORD_1 src1_sel:DWORD
	v_add_f16_e32 v131, v131, v152
	v_add_f16_e32 v132, v132, v151
	v_mul_f16_sdwa v151, v167, v170 dst_sel:DWORD dst_unused:UNUSED_PAD src0_sel:WORD_1 src1_sel:DWORD
	v_add_f16_e32 v149, v175, v149
	v_fmamk_f16 v152, v167, 0xba62, v168
	v_fmac_f16_e32 v168, 0x3a62, v167
	v_fmamk_f16 v175, v54, 0xb8d2, v171
	v_fma_f16 v170, v54, 0xb8d2, -v171
	v_fmamk_f16 v171, v54, 0x3b76, v151
	v_add_f16_e32 v145, v152, v145
	v_mul_f16_sdwa v152, v54, v143 dst_sel:DWORD dst_unused:UNUSED_PAD src0_sel:WORD_1 src1_sel:DWORD
	v_add_f16_e32 v159, v168, v159
	v_mul_f16_sdwa v136, v167, v136 dst_sel:DWORD dst_unused:UNUSED_PAD src0_sel:WORD_1 src1_sel:DWORD
	v_mul_f16_sdwa v138, v54, v138 dst_sel:DWORD dst_unused:UNUSED_PAD src0_sel:WORD_1 src1_sel:DWORD
	v_fma_f16 v151, v54, 0x3b76, -v151
	v_fmamk_f16 v168, v167, 0x35c8, v152
	v_fmac_f16_e32 v152, 0xb5c8, v167
	v_add_f16_e32 v141, v170, v141
	v_fmamk_f16 v170, v54, 0xbbdd, v136
	v_add_f16_e32 v151, v151, v164
	v_add_f16_e32 v147, v168, v147
	v_fmamk_f16 v168, v167, 0x31e1, v138
	v_add_f16_e32 v152, v152, v166
	v_mul_f16_sdwa v164, v167, v139 dst_sel:DWORD dst_unused:UNUSED_PAD src0_sel:WORD_1 src1_sel:DWORD
	v_pk_add_f16 v166, v51, v52 neg_lo:[0,1] neg_hi:[0,1]
	v_add_f16_e32 v148, v170, v148
	v_add_f16_e32 v153, v168, v153
	v_fma_f16 v136, v54, 0xbbdd, -v136
	v_fmac_f16_e32 v138, 0xb1e1, v167
	v_fmamk_f16 v168, v54, 0x39e9, v164
	v_mul_f16_sdwa v170, v54, v121 dst_sel:DWORD dst_unused:UNUSED_PAD src0_sel:WORD_1 src1_sel:DWORD
	v_pk_add_f16 v51, v52, v51
	v_pk_mul_f16 v52, 0xb1e1, v166 op_sel_hi:[0,1]
	v_add_f16_e32 v133, v136, v133
	v_add_f16_e32 v136, v138, v158
	;; [unrolled: 1-line block ×3, first 2 shown]
	v_fmamk_f16 v156, v167, 0xb964, v170
	v_pk_fma_f16 v158, 0xbbdd, v51, v52 op_sel:[0,0,1] op_sel_hi:[0,1,0]
	v_pk_fma_f16 v52, 0xbbdd, v51, v52 op_sel:[0,0,1] op_sel_hi:[0,1,0] neg_lo:[0,0,1] neg_hi:[0,0,1]
	v_mul_f16_sdwa v168, v166, v172 dst_sel:DWORD dst_unused:UNUSED_PAD src0_sel:WORD_1 src1_sel:DWORD
	v_add_f16_e32 v146, v171, v146
	v_add_f16_e32 v156, v156, v157
	v_mul_f16_sdwa v143, v51, v143 dst_sel:DWORD dst_unused:UNUSED_PAD src0_sel:WORD_1 src1_sel:DWORD
	v_bfi_b32 v157, 0xffff, v158, v52
	v_fmamk_f16 v171, v51, 0x3b76, v168
	v_fma_f16 v164, v54, 0x39e9, -v164
	v_mul_f16_sdwa v128, v166, v128 dst_sel:DWORD dst_unused:UNUSED_PAD src0_sel:WORD_1 src1_sel:DWORD
	v_mul_f16_sdwa v127, v51, v127 dst_sel:DWORD dst_unused:UNUSED_PAD src0_sel:WORD_1 src1_sel:DWORD
	v_pk_add_f16 v157, v157, v160
	v_add_f16_e32 v160, v171, v162
	v_fmamk_f16 v162, v166, 0xb5c8, v143
	v_fmac_f16_e32 v143, 0x35c8, v166
	v_mul_f16_sdwa v139, v166, v139 dst_sel:DWORD dst_unused:UNUSED_PAD src0_sel:WORD_1 src1_sel:DWORD
	v_add_f16_e32 v144, v175, v144
	v_add_f16_e32 v154, v164, v154
	v_fma_f16 v164, v51, 0x3b76, -v168
	v_fmamk_f16 v168, v51, 0xbacd, v128
	v_add_f16_e32 v162, v162, v163
	v_add_f16_e32 v143, v143, v150
	v_fmamk_f16 v150, v166, 0x3836, v127
	v_fma_f16 v128, v51, 0xbacd, -v128
	v_fmac_f16_e32 v127, 0xb836, v166
	v_mul_f16_sdwa v121, v51, v121 dst_sel:DWORD dst_unused:UNUSED_PAD src0_sel:WORD_1 src1_sel:DWORD
	v_fmamk_f16 v163, v51, 0x39e9, v139
	v_mul_f16_sdwa v125, v166, v125 dst_sel:DWORD dst_unused:UNUSED_PAD src0_sel:WORD_1 src1_sel:DWORD
	v_add_f16_e32 v161, v179, v161
	v_add_f16_e32 v128, v128, v132
	v_add_f16_e32 v127, v127, v131
	v_fmamk_f16 v131, v166, 0xb964, v121
	v_add_f16_e32 v132, v163, v144
	v_fma_f16 v139, v51, 0x39e9, -v139
	v_fmamk_f16 v144, v51, 0xb8d2, v125
	v_mul_f16_sdwa v124, v51, v124 dst_sel:DWORD dst_unused:UNUSED_PAD src0_sel:WORD_1 src1_sel:DWORD
	v_mul_f16_sdwa v134, v166, v134 dst_sel:DWORD dst_unused:UNUSED_PAD src0_sel:WORD_1 src1_sel:DWORD
	v_add_f16_e32 v161, v177, v161
	v_add_f16_e32 v131, v131, v145
	;; [unrolled: 1-line block ×4, first 2 shown]
	v_fmamk_f16 v144, v166, 0x3a62, v124
	v_mul_f16_sdwa v118, v51, v118 dst_sel:DWORD dst_unused:UNUSED_PAD src0_sel:WORD_1 src1_sel:DWORD
	v_fmamk_f16 v145, v51, 0x3722, v134
	v_fma_f16 v134, v51, 0x3722, -v134
	v_mul_f16_sdwa v119, v166, v119 dst_sel:DWORD dst_unused:UNUSED_PAD src0_sel:WORD_1 src1_sel:DWORD
	v_mul_f16_sdwa v120, v51, v120 dst_sel:DWORD dst_unused:UNUSED_PAD src0_sel:WORD_1 src1_sel:DWORD
	v_add_f16_e32 v161, v168, v161
	v_add_f16_e32 v150, v150, v165
	;; [unrolled: 1-line block ×3, first 2 shown]
	v_fmamk_f16 v146, v166, 0xbb29, v118
	v_fmac_f16_e32 v118, 0x3b29, v166
	v_add_f16_e32 v133, v134, v133
	v_fmamk_f16 v134, v51, 0xb461, v119
	v_fmamk_f16 v147, v166, 0x3bb2, v120
	v_pk_mul_f16 v117, 0xbbdd, v117 op_sel_hi:[0,1]
	v_add_f16_e32 v118, v118, v136
	v_add_f16_e32 v134, v134, v138
	;; [unrolled: 1-line block ×3, first 2 shown]
	v_pack_b32_f16 v138, v161, v150
	v_pack_b32_f16 v147, v160, v162
	s_barrier
	buffer_gl0_inv
	v_pack_b32_f16 v141, v141, v144
	v_pk_fma_f16 v144, 0xb1e1, v115, v117 op_sel:[0,0,1] op_sel_hi:[0,1,0]
	ds_write2_b32 v89, v122, v157 offset1:1
	ds_write2_b32 v89, v147, v138 offset0:2 offset1:3
	v_pk_mul_f16 v122, 0x3b76, v126 op_sel_hi:[0,1]
	v_pack_b32_f16 v131, v132, v131
	v_pk_fma_f16 v115, 0xb1e1, v115, v117 op_sel:[0,0,1] op_sel_hi:[0,1,0] neg_lo:[0,1,0] neg_hi:[0,1,0]
	v_alignbit_b32 v126, s0, v144, 16
	v_pk_mul_f16 v130, 0xbacd, v130 op_sel_hi:[0,1]
	v_pk_fma_f16 v117, 0x35c8, v123, v122 op_sel:[0,0,1] op_sel_hi:[0,1,0]
	v_alignbit_b32 v132, s0, v49, 16
	ds_write2_b32 v89, v131, v141 offset0:4 offset1:5
	v_pack_b32_f16 v131, v134, v136
	v_pk_add_f16 v126, v49, v126
	v_pk_add_f16 v115, v49, v115 op_sel:[1,0] op_sel_hi:[0,1]
	v_alignbit_b32 v134, s0, v117, 16
	v_pk_fma_f16 v122, 0x35c8, v123, v122 op_sel:[0,0,1] op_sel_hi:[0,1,0] neg_lo:[0,1,0] neg_hi:[0,1,0]
	v_pk_fma_f16 v123, 0xb836, v129, v130 op_sel:[0,0,1] op_sel_hi:[0,1,0]
	v_pk_add_f16 v132, v132, v144
	v_pk_mul_f16 v136, 0x39e9, v137 op_sel_hi:[0,1]
	v_pk_add_f16 v126, v134, v126
	v_pk_add_f16 v115, v122, v115
	v_alignbit_b32 v122, s0, v123, 16
	v_pk_fma_f16 v129, 0xb836, v129, v130 op_sel:[0,0,1] op_sel_hi:[0,1,0] neg_lo:[0,1,0] neg_hi:[0,1,0]
	v_pk_fma_f16 v130, 0x3964, v135, v136 op_sel:[0,0,1] op_sel_hi:[0,1,0]
	v_pk_add_f16 v117, v117, v132
	v_pk_mul_f16 v132, 0xb8d2, v142 op_sel_hi:[0,1]
	v_bfi_b32 v50, 0xffff, v116, v50
	v_pk_add_f16 v122, v122, v126
	v_alignbit_b32 v126, s0, v130, 16
	v_pk_add_f16 v115, v129, v115
	v_pk_fma_f16 v134, 0xba62, v140, v132 op_sel:[0,0,1] op_sel_hi:[0,1,0]
	v_pk_add_f16 v49, v49, v50
	v_bfi_b32 v50, 0xffff, v64, v61
	v_pk_fma_f16 v129, 0x3964, v135, v136 op_sel:[0,0,1] op_sel_hi:[0,1,0] neg_lo:[0,1,0] neg_hi:[0,1,0]
	v_pk_add_f16 v117, v123, v117
	v_pk_add_f16 v122, v126, v122
	v_alignbit_b32 v123, s0, v134, 16
	v_pk_mul_f16 v53, 0x3722, v53 op_sel_hi:[0,1]
	v_pk_add_f16 v49, v50, v49
	v_bfi_b32 v50, 0xffff, v63, v62
	v_pk_add_f16 v115, v129, v115
	v_pk_fma_f16 v126, 0xba62, v140, v132 op_sel:[0,0,1] op_sel_hi:[0,1,0] neg_lo:[0,1,0] neg_hi:[0,1,0]
	v_pk_add_f16 v117, v130, v117
	v_pk_add_f16 v116, v123, v122
	v_pk_fma_f16 v122, 0x3b29, v173, v53 op_sel:[0,0,1] op_sel_hi:[0,1,0]
	v_pk_mul_f16 v54, 0xb461, v54 op_sel_hi:[0,1]
	v_pk_add_f16 v49, v50, v49
	v_bfi_b32 v50, 0xffff, v60, v57
	v_fma_f16 v125, v51, 0xb8d2, -v125
	v_fma_f16 v119, v51, 0xb461, -v119
	v_pk_add_f16 v115, v126, v115
	v_pk_add_f16 v61, v134, v117
	v_alignbit_b32 v64, s0, v122, 16
	v_pk_fma_f16 v53, 0x3b29, v173, v53 op_sel:[0,0,1] op_sel_hi:[0,1,0] neg_lo:[0,1,0] neg_hi:[0,1,0]
	v_pk_fma_f16 v117, 0xbbb2, v167, v54 op_sel:[0,0,1] op_sel_hi:[0,1,0]
	v_pk_mul_f16 v51, 0x2de8, v51 op_sel_hi:[0,1]
	v_pk_add_f16 v49, v50, v49
	v_bfi_b32 v50, 0xffff, v59, v58
	v_pk_add_f16 v62, v64, v116
	v_pk_add_f16 v53, v53, v115
	v_alignbit_b32 v63, s0, v117, 16
	v_pk_add_f16 v57, v122, v61
	v_pk_fma_f16 v54, 0xbbb2, v167, v54 op_sel:[0,0,1] op_sel_hi:[0,1,0] neg_lo:[0,1,0] neg_hi:[0,1,0]
	v_pk_fma_f16 v61, 0x3bf7, v166, v51 op_sel:[0,0,1] op_sel_hi:[0,1,0]
	v_fmac_f16_e32 v170, 0x3964, v167
	v_pk_add_f16 v49, v50, v49
	v_bfi_b32 v50, 0xffff, v56, v174
	v_pk_add_f16 v60, v63, v62
	v_pk_add_f16 v53, v54, v53
	v_pk_fma_f16 v51, 0x3bf7, v166, v51 op_sel:[0,0,1] op_sel_hi:[0,1,0] neg_lo:[0,1,0] neg_hi:[0,1,0]
	v_pk_add_f16 v54, v117, v57
	v_alignbit_b32 v57, s0, v61, 16
	v_add_f16_e32 v155, v170, v155
	v_fmac_f16_e32 v120, 0xbbb2, v166
	v_fmac_f16_e32 v121, 0x3964, v166
	;; [unrolled: 1-line block ×3, first 2 shown]
	v_pk_add_f16 v49, v50, v49
	v_bfi_b32 v50, 0xffff, v55, v169
	v_add_f16_e32 v145, v145, v148
	v_add_f16_e32 v146, v146, v153
	v_pk_add_f16 v51, v51, v53
	v_pk_add_f16 v53, v61, v54
	;; [unrolled: 1-line block ×3, first 2 shown]
	v_add_f16_e32 v119, v119, v154
	v_add_f16_e32 v120, v120, v155
	;; [unrolled: 1-line block ×6, first 2 shown]
	v_pk_add_f16 v49, v50, v49
	v_bfi_b32 v50, 0xffff, v52, v158
	v_pack_b32_f16 v135, v145, v146
	v_alignbit_b32 v53, v53, v51, 16
	v_pack_b32_f16 v51, v54, v51
	v_pack_b32_f16 v54, v133, v118
	;; [unrolled: 1-line block ×7, first 2 shown]
	v_pk_add_f16 v49, v50, v49
	ds_write2_b32 v89, v135, v131 offset0:6 offset1:7
	ds_write2_b32 v89, v51, v53 offset0:8 offset1:9
	;; [unrolled: 1-line block ×5, first 2 shown]
	ds_write_b32 v89, v49 offset:64
	s_and_saveexec_b32 s0, vcc_lo
	s_cbranch_execz .LBB0_13
; %bb.12:
	v_add_f16_e32 v49, v47, v110
	v_add_f16_sdwa v64, v105, v112 dst_sel:DWORD dst_unused:UNUSED_PAD src0_sel:WORD_1 src1_sel:DWORD
	v_sub_f16_e32 v55, v48, v15
	v_sub_f16_e32 v52, v45, v18
	;; [unrolled: 1-line block ×3, first 2 shown]
	v_add_f16_e32 v49, v48, v49
	v_sub_f16_e32 v54, v47, v16
	v_add_f16_e32 v89, v96, v114
	v_mul_f16_e32 v172, 0xbbdd, v64
	v_add_f16_e32 v115, v97, v113
	v_add_f16_e32 v49, v45, v49
	v_sub_f16_e32 v50, v46, v17
	v_mul_f16_e32 v173, 0x3b76, v89
	v_sub_f16_sdwa v137, v112, v105 dst_sel:DWORD dst_unused:UNUSED_PAD src0_sel:DWORD src1_sel:WORD_1
	v_add_f16_e32 v117, v98, v99
	v_add_f16_e32 v49, v46, v49
	;; [unrolled: 1-line block ×3, first 2 shown]
	v_mul_f16_e32 v174, 0xbacd, v115
	v_add_f16_e32 v47, v16, v47
	v_sub_f16_e32 v139, v114, v96
	v_add_f16_e32 v49, v19, v49
	v_add_f16_e32 v120, v100, v101
	v_mul_f16_e32 v175, 0xb1e1, v137
	v_mul_f16_e32 v178, 0x39e9, v117
	v_sub_f16_e32 v170, v113, v97
	v_add_f16_e32 v49, v20, v49
	v_mul_f16_e32 v176, 0x35c8, v139
	v_mul_f16_e32 v180, 0xb8d2, v120
	v_add_f16_e32 v143, v103, v102
	v_sub_f16_e32 v171, v99, v98
	v_add_f16_e32 v49, v43, v49
	v_mul_f16_e32 v177, 0xb836, v170
	v_add_f16_e32 v182, v106, v104
	v_mul_f16_e32 v181, 0x3722, v143
	v_mul_f16_e32 v179, 0x3964, v171
	v_add_f16_e32 v53, v105, v49
	v_sub_f16_e32 v49, v20, v21
	v_mul_f16_e32 v183, 0xb461, v182
	v_sub_f16_e32 v184, v101, v100
	v_mul_f16_e32 v186, 0xbacd, v64
	v_add_f16_e32 v56, v41, v53
	v_add_f16_e32 v53, v15, v48
	;; [unrolled: 1-line block ×6, first 2 shown]
	v_mul_f16_e32 v185, 0xba62, v184
	v_mul_f16_e32 v187, 0x3722, v89
	v_sub_f16_e32 v188, v102, v103
	v_mul_f16_e32 v190, 0x2de8, v115
	v_add_f16_e32 v20, v21, v56
	v_fmamk_f16 v21, v47, 0xbbdd, v175
	v_add_f16_e32 v191, v107, v108
	v_mul_f16_e32 v189, 0x3b29, v188
	v_sub_f16_e32 v193, v104, v106
	v_add_f16_e32 v20, v22, v20
	v_fmamk_f16 v22, v55, 0xb5c8, v173
	v_add_f16_e32 v21, v110, v21
	v_mul_f16_e32 v192, 0x2de8, v191
	v_mul_f16_e32 v194, 0xbbb2, v193
	v_add_f16_e32 v17, v17, v20
	v_fmamk_f16 v20, v54, 0x31e1, v172
	v_mul_f16_e32 v195, 0xb8d2, v117
	v_mul_f16_e32 v196, 0x3b76, v120
	;; [unrolled: 1-line block ×3, first 2 shown]
	v_add_f16_e32 v17, v18, v17
	v_add_f16_e32 v18, v111, v20
	v_fmamk_f16 v20, v53, 0x3b76, v176
	v_sub_f16_e32 v198, v108, v107
	v_mul_f16_e32 v200, 0x39e9, v182
	v_add_f16_e32 v15, v15, v17
	v_add_f16_e32 v17, v22, v18
	v_fmamk_f16 v18, v52, 0x3836, v174
	v_add_f16_e32 v20, v20, v21
	v_fmamk_f16 v21, v48, 0xbacd, v177
	;; [unrolled: 2-line block ×5, first 2 shown]
	v_fmamk_f16 v22, v55, 0xbb29, v187
	v_add_f16_e32 v16, v16, v17
	v_fmamk_f16 v17, v51, 0x3a62, v180
	v_add_f16_e32 v18, v18, v20
	v_add_f16_e32 v21, v111, v21
	v_mul_f16_e32 v199, 0x3bf7, v198
	v_mul_f16_e32 v201, 0xb836, v137
	v_add_f16_e32 v16, v17, v16
	v_fmamk_f16 v17, v49, 0xbb29, v181
	v_add_f16_e32 v21, v22, v21
	v_fmamk_f16 v22, v19, 0x3722, v189
	v_mul_f16_e32 v202, 0x3b29, v139
	v_mul_f16_e32 v203, 0xbbf7, v170
	v_add_f16_e32 v16, v17, v16
	v_sub_f16_e32 v17, v43, v42
	v_mul_f16_e32 v204, 0x3a62, v171
	v_mul_f16_e32 v205, 0xb8d2, v64
	;; [unrolled: 1-line block ×4, first 2 shown]
	v_fmamk_f16 v20, v17, 0x3bb2, v183
	v_mul_f16_e32 v208, 0x3b76, v115
	v_mul_f16_e32 v209, 0xb1e1, v188
	v_fmamk_f16 v56, v55, 0xbbb2, v206
	v_mul_f16_e32 v210, 0xb461, v191
	v_add_f16_e32 v16, v20, v16
	v_fmamk_f16 v20, v45, 0xb8d2, v185
	v_mul_f16_e32 v211, 0xbacd, v117
	v_mul_f16_e32 v212, 0x3964, v193
	v_mul_f16_e32 v213, 0x2de8, v120
	v_mul_f16_e32 v214, 0x39e9, v143
	v_add_f16_e32 v20, v20, v18
	v_add_f16_e32 v18, v42, v43
	v_fmamk_f16 v43, v53, 0x3722, v202
	v_mul_f16_e32 v215, 0xbbb2, v198
	v_mul_f16_e32 v216, 0xbbdd, v182
	v_add_f16_e32 v20, v22, v20
	v_fmamk_f16 v22, v52, 0x3bf7, v190
	v_mul_f16_e32 v217, 0xba62, v137
	v_mul_f16_e32 v218, 0x3bb2, v139
	;; [unrolled: 1-line block ×4, first 2 shown]
	v_add_f16_e32 v22, v22, v21
	v_sub_f16_e32 v21, v105, v41
	v_fmamk_f16 v57, v53, 0xb461, v218
	v_mul_f16_e32 v221, 0xb461, v64
	v_mul_f16_e32 v222, 0xbacd, v89
	;; [unrolled: 1-line block ×3, first 2 shown]
	v_fmamk_f16 v42, v21, 0xbbf7, v192
	v_mul_f16_e32 v224, 0x39e9, v115
	v_mul_f16_e32 v225, 0xb964, v188
	v_fmamk_f16 v58, v55, 0xb836, v222
	v_mul_f16_e32 v226, 0x3722, v191
	v_add_f16_e32 v16, v42, v16
	v_fmamk_f16 v42, v18, 0xb461, v194
	v_mul_f16_e32 v227, 0x3722, v117
	v_mul_f16_e32 v228, 0xb1e1, v193
	;; [unrolled: 1-line block ×4, first 2 shown]
	v_add_f16_e32 v20, v42, v20
	v_fmamk_f16 v42, v50, 0xba62, v195
	v_mul_f16_e32 v231, 0x3b29, v198
	v_mul_f16_e32 v169, 0x3b76, v182
	;; [unrolled: 1-line block ×4, first 2 shown]
	v_add_f16_e32 v42, v42, v22
	v_add_f16_e32 v22, v41, v105
	v_fmamk_f16 v41, v51, 0x35c8, v196
	v_mul_f16_e32 v234, 0x3964, v170
	v_fmamk_f16 v59, v53, 0xbacd, v233
	v_mul_f16_e32 v235, 0xbb29, v171
	v_mul_f16_e32 v236, 0x2de8, v64
	v_add_f16_e32 v41, v41, v42
	v_fmamk_f16 v42, v49, 0x31e1, v197
	v_mul_f16_e32 v237, 0xbbdd, v89
	v_mul_f16_e32 v238, 0xb1e1, v184
	;; [unrolled: 1-line block ×4, first 2 shown]
	v_add_f16_e32 v41, v42, v41
	v_fmamk_f16 v42, v22, 0x2de8, v199
	v_fmamk_f16 v60, v55, 0x31e1, v237
	v_mul_f16_e32 v167, 0xb8d2, v191
	v_mul_f16_e32 v165, 0x3b76, v117
	;; [unrolled: 1-line block ×3, first 2 shown]
	v_add_f16_e32 v20, v42, v20
	v_fmamk_f16 v42, v17, 0xb964, v200
	v_mul_f16_e32 v156, 0x3722, v120
	v_mul_f16_e32 v155, 0xbacd, v143
	;; [unrolled: 1-line block ×4, first 2 shown]
	v_add_f16_e32 v41, v42, v41
	v_fmamk_f16 v42, v47, 0xbacd, v201
	v_mul_f16_e32 v240, 0xbbf7, v137
	v_mul_f16_e32 v241, 0xb1e1, v139
	;; [unrolled: 1-line block ×4, first 2 shown]
	v_add_f16_e32 v42, v110, v42
	v_mul_f16_e32 v161, 0x3722, v64
	v_fmamk_f16 v61, v53, 0xbbdd, v241
	v_mul_f16_e32 v162, 0xb8d2, v89
	v_mul_f16_e32 v160, 0xbb29, v184
	v_add_f16_e32 v42, v43, v42
	v_fmamk_f16 v43, v48, 0x2de8, v203
	v_mul_f16_e32 v159, 0xbbdd, v115
	v_fmamk_f16 v62, v55, 0x3a62, v162
	v_mul_f16_e32 v157, 0xb836, v188
	v_mul_f16_e32 v158, 0x39e9, v191
	v_add_f16_e32 v42, v43, v42
	v_fmamk_f16 v43, v46, 0xb8d2, v204
	v_mul_f16_e32 v154, 0xb461, v117
	v_mul_f16_e32 v132, 0x3a62, v193
	;; [unrolled: 1-line block ×4, first 2 shown]
	v_add_f16_e32 v42, v43, v42
	v_fmamk_f16 v43, v54, 0x3a62, v205
	v_mul_f16_e32 v127, 0x3964, v198
	v_mul_f16_e32 v129, 0x2de8, v182
	;; [unrolled: 1-line block ×4, first 2 shown]
	v_add_f16_e32 v43, v111, v43
	v_mul_f16_e32 v144, 0x31e1, v170
	v_mul_f16_e32 v140, 0x3bb2, v171
	v_mul_f16_e32 v153, 0x39e9, v64
	v_fmamk_f16 v63, v53, 0xb8d2, v148
	v_add_f16_e32 v43, v56, v43
	v_fmamk_f16 v56, v45, 0x3b76, v207
	v_mul_f16_e32 v152, 0x2de8, v89
	v_mul_f16_e32 v138, 0x3964, v184
	;; [unrolled: 1-line block ×4, first 2 shown]
	v_add_f16_e32 v42, v56, v42
	v_fmamk_f16 v56, v52, 0x35c8, v208
	v_fmamk_f16 v116, v55, 0x3bf7, v152
	v_mul_f16_e32 v134, 0xbacd, v191
	v_mul_f16_e32 v150, 0xbbdd, v117
	v_mul_f16_e32 v136, 0xbbf7, v193
	v_add_f16_e32 v43, v56, v43
	v_fmamk_f16 v56, v19, 0xbbdd, v209
	v_mul_f16_e32 v146, 0xbacd, v120
	v_mul_f16_e32 v142, 0xb461, v143
	v_mul_f16_e32 v130, 0x3722, v182
	v_mul_f16_e32 v128, 0xb964, v137
	v_add_f16_e32 v42, v56, v42
	v_fmamk_f16 v56, v21, 0x3bb2, v210
	v_mul_f16_e32 v122, 0xbbf7, v139
	v_mul_f16_e32 v121, 0xba62, v170
	v_mul_f16_e32 v133, 0x3b76, v64
	v_mul_f16_e32 v124, 0x39e9, v89
	v_add_f16_e32 v41, v56, v41
	v_fmamk_f16 v56, v50, 0x3836, v211
	v_mul_f16_e32 v126, 0x3722, v115
	v_fmamk_f16 v64, v54, 0x35c8, v133
	v_fmamk_f16 v89, v55, 0x3964, v124
	v_mul_f16_e32 v125, 0x2de8, v117
	v_add_f16_e32 v43, v56, v43
	v_fmamk_f16 v56, v18, 0x39e9, v212
	v_add_f16_e32 v64, v111, v64
	v_fmamk_f16 v115, v52, 0x3b29, v126
	v_mul_f16_e32 v117, 0x3b29, v193
	v_mul_f16_e32 v123, 0xb461, v120
	v_add_f16_e32 v42, v56, v42
	v_fmamk_f16 v56, v51, 0xbbf7, v213
	v_add_f16_e32 v64, v89, v64
	v_add_f16_e32 v112, v112, v111
	v_mul_f16_e32 v120, 0x35c8, v198
	v_fmac_f16_e32 v172, 0xb1e1, v54
	v_add_f16_e32 v43, v56, v43
	v_fmamk_f16 v56, v49, 0x3964, v214
	v_add_f16_e32 v64, v115, v64
	v_add_f16_e32 v114, v114, v112
	v_mul_f16_e32 v112, 0xb8d2, v143
	v_fmac_f16_e32 v173, 0x35c8, v55
	v_add_f16_e32 v43, v56, v43
	v_fmamk_f16 v56, v22, 0xb461, v215
	v_add_f16_e32 v113, v113, v114
	v_fmamk_f16 v143, v49, 0x3a62, v112
	v_fmac_f16_e32 v174, 0xb836, v52
	v_fmac_f16_e32 v178, 0x3964, v50
	v_add_f16_e32 v42, v56, v42
	v_fmamk_f16 v56, v17, 0x31e1, v216
	v_add_f16_e32 v113, v99, v113
	v_mul_f16_e32 v99, 0xbacd, v182
	v_fmac_f16_e32 v180, 0xba62, v51
	v_fmac_f16_e32 v181, 0x3b29, v49
	v_add_f16_e32 v43, v56, v43
	v_fmamk_f16 v56, v47, 0xb8d2, v217
	v_add_f16_e32 v101, v101, v113
	v_fmac_f16_e32 v222, 0x3836, v55
	v_fmac_f16_e32 v237, 0xb1e1, v55
	;; [unrolled: 1-line block ×3, first 2 shown]
	v_add_f16_e32 v56, v110, v56
	v_add_f16_e32 v101, v102, v101
	v_fmac_f16_e32 v186, 0xb836, v54
	v_fmac_f16_e32 v187, 0x3b29, v55
	;; [unrolled: 1-line block ×3, first 2 shown]
	v_add_f16_e32 v56, v57, v56
	v_fmamk_f16 v57, v48, 0x3b76, v219
	v_add_f16_e32 v101, v104, v101
	v_fmac_f16_e32 v206, 0x3bb2, v55
	v_fma_f16 v148, v53, 0xb8d2, -v148
	v_fmac_f16_e32 v152, 0xbbf7, v55
	v_add_f16_e32 v56, v57, v56
	v_fmamk_f16 v57, v46, 0xbacd, v220
	v_add_f16_e32 v108, v108, v101
	v_fmac_f16_e32 v133, 0xb5c8, v54
	v_fmac_f16_e32 v124, 0xb964, v55
	v_fma_f16 v55, v47, 0x39e9, -v128
	v_add_f16_e32 v56, v57, v56
	v_fmamk_f16 v57, v54, 0x3bb2, v221
	v_add_f16_e32 v108, v107, v108
	v_mul_f16_e32 v107, 0xba62, v188
	v_fmac_f16_e32 v221, 0xbbb2, v54
	v_add_f16_e32 v55, v110, v55
	v_add_f16_e32 v57, v111, v57
	v_add_f16_e32 v106, v106, v108
	v_fmac_f16_e32 v190, 0xbbf7, v52
	v_fmac_f16_e32 v208, 0xb5c8, v52
	v_fmac_f16_e32 v126, 0xbb29, v52
	v_add_f16_e32 v57, v58, v57
	v_fmamk_f16 v58, v45, 0x2de8, v223
	v_fmac_f16_e32 v195, 0x3a62, v50
	v_fmac_f16_e32 v211, 0xb836, v50
	v_fmac_f16_e32 v196, 0xb5c8, v51
	v_fmac_f16_e32 v213, 0x3bf7, v51
	v_add_f16_e32 v56, v58, v56
	v_fmamk_f16 v58, v52, 0xb964, v224
	v_fmac_f16_e32 v224, 0x3964, v52
	;; [unrolled: 6-line block ×4, first 2 shown]
	v_fmac_f16_e32 v226, 0x3b29, v21
	v_pack_b32_f16 v41, v42, v41
	v_pack_b32_f16 v16, v20, v16
	v_add_f16_e32 v43, v58, v43
	v_fmamk_f16 v58, v50, 0x3b29, v227
	v_fmac_f16_e32 v227, 0xbb29, v50
	v_add_f16_e32 v57, v58, v57
	v_fmamk_f16 v58, v18, 0xbbdd, v228
	v_add_f16_e32 v56, v58, v56
	v_fmamk_f16 v58, v51, 0x31e1, v229
	v_fmac_f16_e32 v229, 0xb1e1, v51
	v_add_f16_e32 v57, v58, v57
	v_fmamk_f16 v58, v49, 0xbbf7, v230
	v_fmac_f16_e32 v230, 0x3bf7, v49
	v_add_f16_e32 v57, v58, v57
	v_fmamk_f16 v58, v22, 0x3722, v231
	v_add_f16_e32 v56, v58, v56
	v_fmamk_f16 v58, v17, 0x35c8, v169
	v_fmac_f16_e32 v169, 0xb5c8, v17
	v_pack_b32_f16 v42, v56, v43
	v_add_f16_e32 v57, v58, v57
	v_fmamk_f16 v58, v47, 0xb461, v232
	v_add_f16_e32 v58, v110, v58
	v_add_f16_e32 v58, v59, v58
	v_fmamk_f16 v59, v48, 0x39e9, v234
	v_add_f16_e32 v58, v59, v58
	v_fmamk_f16 v59, v46, 0x3722, v235
	;; [unrolled: 2-line block ×3, first 2 shown]
	v_fmac_f16_e32 v236, 0xbbf7, v54
	v_add_f16_e32 v59, v111, v59
	v_add_f16_e32 v59, v60, v59
	v_fmamk_f16 v60, v45, 0xbbdd, v238
	v_add_f16_e32 v58, v60, v58
	v_fmamk_f16 v60, v52, 0xbbb2, v164
	v_fmac_f16_e32 v164, 0x3bb2, v52
	v_add_f16_e32 v59, v60, v59
	v_fmamk_f16 v60, v19, 0x2de8, v239
	v_add_f16_e32 v58, v60, v58
	v_fmamk_f16 v60, v21, 0x3a62, v167
	v_fmac_f16_e32 v167, 0xba62, v21
	v_add_f16_e32 v57, v60, v57
	v_fmamk_f16 v60, v50, 0xb5c8, v165
	v_fmac_f16_e32 v165, 0x35c8, v50
	v_add_f16_e32 v59, v60, v59
	v_fmamk_f16 v60, v18, 0x3b76, v168
	v_fma_f16 v168, v18, 0x3b76, -v168
	v_add_f16_e32 v58, v60, v58
	v_fmamk_f16 v60, v51, 0x3b29, v156
	v_fmac_f16_e32 v156, 0xbb29, v51
	v_add_f16_e32 v59, v60, v59
	v_fmamk_f16 v60, v49, 0x3836, v155
	v_fmac_f16_e32 v155, 0xb836, v49
	v_add_f16_e32 v59, v60, v59
	v_fmamk_f16 v60, v22, 0xb8d2, v145
	v_fma_f16 v145, v22, 0xb8d2, -v145
	v_add_f16_e32 v58, v60, v58
	v_fmamk_f16 v60, v17, 0xba62, v151
	v_fmac_f16_e32 v151, 0x3a62, v17
	v_add_f16_e32 v59, v60, v59
	v_fmamk_f16 v60, v47, 0x2de8, v240
	v_add_f16_e32 v60, v110, v60
	v_add_f16_e32 v60, v61, v60
	v_fmamk_f16 v61, v48, 0xb461, v166
	v_add_f16_e32 v60, v61, v60
	v_fmamk_f16 v61, v46, 0x3b76, v163
	v_add_f16_e32 v60, v61, v60
	v_fmamk_f16 v61, v54, 0x3b29, v161
	v_fmac_f16_e32 v161, 0xbb29, v54
	v_add_f16_e32 v61, v111, v61
	v_add_f16_e32 v161, v111, v161
	;; [unrolled: 1-line block ×3, first 2 shown]
	v_fmamk_f16 v62, v45, 0x3722, v160
	v_add_f16_e32 v161, v162, v161
	v_add_f16_e32 v60, v62, v60
	v_fmamk_f16 v62, v52, 0xb1e1, v159
	v_fmac_f16_e32 v159, 0x31e1, v52
	v_add_f16_e32 v61, v62, v61
	v_fmamk_f16 v62, v19, 0xbacd, v157
	v_fma_f16 v157, v19, 0xbacd, -v157
	v_add_f16_e32 v60, v62, v60
	v_fmamk_f16 v62, v21, 0xb964, v158
	v_fmac_f16_e32 v158, 0x3964, v21
	v_add_f16_e32 v59, v62, v59
	v_fmamk_f16 v62, v50, 0xbbb2, v154
	v_fmac_f16_e32 v154, 0x3bb2, v50
	v_add_f16_e32 v61, v62, v61
	v_fmamk_f16 v62, v18, 0xb8d2, v132
	v_fma_f16 v132, v18, 0xb8d2, -v132
	v_add_f16_e32 v60, v62, v60
	v_fmamk_f16 v62, v51, 0xb964, v141
	v_fmac_f16_e32 v141, 0x3964, v51
	;; [unrolled: 9-line block ×3, first 2 shown]
	v_add_f16_e32 v61, v62, v61
	v_fmamk_f16 v62, v47, 0x3722, v147
	v_fma_f16 v147, v47, 0x3722, -v147
	v_add_f16_e32 v62, v110, v62
	v_add_f16_e32 v147, v110, v147
	v_add_f16_e32 v62, v63, v62
	v_fmamk_f16 v63, v48, 0xbbdd, v144
	v_add_f16_e32 v147, v148, v147
	v_fma_f16 v144, v48, 0xbbdd, -v144
	v_add_f16_e32 v62, v63, v62
	v_fmamk_f16 v63, v46, 0xb461, v140
	v_add_f16_e32 v144, v144, v147
	v_fma_f16 v140, v46, 0xb461, -v140
	v_add_f16_e32 v62, v63, v62
	v_fmamk_f16 v63, v54, 0x3964, v153
	v_fmac_f16_e32 v153, 0xb964, v54
	v_add_f16_e32 v140, v140, v144
	v_add_f16_e32 v63, v111, v63
	;; [unrolled: 1-line block ×4, first 2 shown]
	v_fmamk_f16 v116, v45, 0x39e9, v138
	v_add_f16_e32 v148, v152, v148
	v_add_f16_e32 v62, v116, v62
	v_fmamk_f16 v116, v52, 0x3a62, v149
	v_fmac_f16_e32 v149, 0xba62, v52
	v_add_f16_e32 v63, v116, v63
	v_fmamk_f16 v116, v19, 0x3b76, v135
	v_add_f16_e32 v62, v116, v62
	v_fmamk_f16 v116, v21, 0x3836, v134
	v_fmac_f16_e32 v134, 0xb836, v21
	v_add_f16_e32 v61, v116, v61
	v_fmamk_f16 v116, v50, 0x31e1, v150
	v_fmac_f16_e32 v150, 0xb1e1, v50
	v_add_f16_e32 v63, v116, v63
	v_fmamk_f16 v116, v18, 0x2de8, v136
	v_add_f16_e32 v62, v116, v62
	v_fmamk_f16 v116, v51, 0xb836, v146
	v_fmac_f16_e32 v146, 0x3836, v51
	v_add_f16_e32 v63, v116, v63
	v_fmamk_f16 v116, v49, 0xbbb2, v142
	v_fmac_f16_e32 v142, 0x3bb2, v49
	v_add_f16_e32 v116, v116, v63
	v_mul_f16_e32 v63, 0xb836, v198
	v_fmamk_f16 v118, v22, 0xbacd, v63
	v_add_f16_e32 v62, v118, v62
	v_fmamk_f16 v118, v17, 0xbb29, v130
	v_fmac_f16_e32 v130, 0x3b29, v17
	v_add_f16_e32 v242, v118, v116
	v_fmamk_f16 v116, v47, 0x39e9, v128
	v_fmamk_f16 v118, v53, 0x2de8, v122
	v_fma_f16 v122, v53, 0x2de8, -v122
	v_add_f16_e32 v116, v110, v116
	v_add_f16_e32 v55, v122, v55
	;; [unrolled: 1-line block ×3, first 2 shown]
	v_fmamk_f16 v118, v48, 0xb8d2, v121
	v_add_f16_e32 v116, v118, v116
	v_mul_f16_e32 v118, 0xb1e1, v171
	v_fmamk_f16 v119, v46, 0xbbdd, v118
	v_add_f16_e32 v116, v119, v116
	v_mul_f16_e32 v119, 0x3836, v184
	;; [unrolled: 3-line block ×3, first 2 shown]
	v_fmamk_f16 v115, v19, 0xb461, v116
	v_fma_f16 v49, v19, 0xb461, -v116
	v_add_f16_e32 v89, v115, v89
	v_fmamk_f16 v115, v50, 0x3bf7, v125
	v_fmac_f16_e32 v125, 0xbbf7, v50
	v_fma_f16 v50, v46, 0xbbdd, -v118
	v_add_f16_e32 v64, v115, v64
	v_fmamk_f16 v115, v18, 0x3722, v117
	v_add_f16_e32 v89, v115, v89
	v_fmamk_f16 v115, v51, 0x3bb2, v123
	v_fmac_f16_e32 v123, 0xbbb2, v51
	v_fma_f16 v51, v45, 0xbacd, -v119
	v_add_f16_e32 v243, v115, v64
	v_mul_f16_e32 v115, 0x3b76, v191
	v_fmamk_f16 v64, v21, 0xb5c8, v115
	v_fmac_f16_e32 v115, 0x35c8, v21
	v_add_f16_e32 v64, v64, v242
	v_fmamk_f16 v242, v22, 0x3b76, v120
	v_add_f16_e32 v89, v242, v89
	v_add_f16_e32 v242, v143, v243
	v_mul_f16_e32 v143, 0xb5c8, v137
	v_mul_f16_e32 v137, 0xb964, v139
	v_fmamk_f16 v114, v47, 0x3b76, v143
	v_fmamk_f16 v139, v53, 0x39e9, v137
	v_fma_f16 v52, v53, 0x39e9, -v137
	v_add_f16_e32 v114, v110, v114
	v_add_f16_e32 v114, v139, v114
	v_fmamk_f16 v139, v17, 0x3836, v99
	v_fmac_f16_e32 v99, 0xb836, v17
	v_add_f16_e32 v182, v139, v242
	v_mul_f16_e32 v139, 0xbb29, v170
	v_fmamk_f16 v170, v19, 0xb8d2, v107
	v_fmamk_f16 v113, v48, 0x3722, v139
	v_add_f16_e32 v113, v113, v114
	v_mul_f16_e32 v114, 0xbbf7, v171
	v_fmamk_f16 v102, v46, 0x2de8, v114
	v_add_f16_e32 v102, v102, v113
	v_mul_f16_e32 v113, 0xbbb2, v184
	;; [unrolled: 3-line block ×3, first 2 shown]
	v_add_f16_e32 v170, v170, v104
	v_mul_f16_e32 v104, 0xb836, v193
	v_fmamk_f16 v101, v21, 0x31e1, v102
	v_fmac_f16_e32 v102, 0xb1e1, v21
	v_fmamk_f16 v108, v18, 0xbacd, v104
	v_add_f16_e32 v101, v101, v182
	v_add_f16_e32 v108, v108, v170
	;; [unrolled: 1-line block ×4, first 2 shown]
	v_mul_f16_e32 v106, 0xb1e1, v198
	v_fma_f16 v172, v45, 0x2de8, -v223
	v_add_f16_e32 v100, v100, v170
	v_add_f16_e32 v171, v173, v103
	v_fmamk_f16 v103, v22, 0xbbdd, v106
	v_fma_f16 v170, v53, 0x3b76, -v176
	v_fma_f16 v173, v53, 0xbacd, -v233
	v_add_f16_e32 v98, v98, v100
	v_add_f16_e32 v103, v103, v108
	v_add_f16_e32 v108, v174, v171
	v_fma_f16 v171, v53, 0xb461, -v218
	v_add_f16_e32 v97, v97, v98
	v_add_f16_e32 v100, v178, v108
	v_fma_f16 v108, v47, 0xbbdd, -v175
	v_add_f16_e32 v96, v96, v97
	v_add_f16_e32 v98, v180, v100
	v_add_f16_e32 v108, v110, v108
	v_fma_f16 v100, v48, 0xbacd, -v177
	v_add_f16_sdwa v96, v105, v96 dst_sel:DWORD dst_unused:UNUSED_PAD src0_sel:WORD_1 src1_sel:DWORD
	v_fma_f16 v105, v19, 0x3722, -v189
	v_add_f16_e32 v97, v181, v98
	v_add_f16_e32 v108, v170, v108
	v_fma_f16 v98, v46, 0x39e9, -v179
	v_fma_f16 v170, v22, 0x2de8, -v199
	v_pack_b32_f16 v15, v15, v96
	v_add_f16_e32 v97, v183, v97
	v_add_f16_e32 v100, v100, v108
	v_fma_f16 v108, v53, 0x3722, -v202
	v_add_f16_e32 v97, v192, v97
	v_add_f16_e32 v98, v98, v100
	v_fma_f16 v100, v45, 0xb8d2, -v185
	v_add_f16_e32 v98, v100, v98
	v_add_f16_e32 v100, v111, v186
	v_add_f16_e32 v98, v105, v98
	v_fma_f16 v105, v18, 0xb461, -v194
	v_add_f16_e32 v100, v187, v100
	v_add_f16_e32 v98, v105, v98
	v_fma_f16 v105, v47, 0xbacd, -v201
	v_add_f16_e32 v100, v190, v100
	;; [unrolled: 7-line block ×3, first 2 shown]
	v_add_f16_e32 v105, v108, v105
	v_fma_f16 v108, v46, 0xb8d2, -v204
	v_add_f16_e32 v100, v197, v100
	v_add_f16_e32 v105, v108, v105
	;; [unrolled: 1-line block ×5, first 2 shown]
	v_fma_f16 v170, v19, 0xbbdd, -v209
	v_add_f16_e32 v108, v206, v108
	v_add_f16_e32 v100, v210, v100
	;; [unrolled: 1-line block ×3, first 2 shown]
	v_fma_f16 v170, v18, 0x39e9, -v212
	v_add_f16_e32 v108, v208, v108
	v_add_f16_e32 v105, v170, v105
	v_fma_f16 v170, v47, 0xb8d2, -v217
	v_add_f16_e32 v108, v211, v108
	v_add_f16_e32 v170, v110, v170
	;; [unrolled: 1-line block ×4, first 2 shown]
	v_fma_f16 v171, v48, 0x3b76, -v219
	v_add_f16_e32 v108, v214, v108
	v_add_f16_e32 v170, v171, v170
	v_fma_f16 v171, v22, 0xb461, -v215
	v_add_f16_e32 v108, v216, v108
	v_add_f16_e32 v105, v171, v105
	v_fma_f16 v171, v46, 0xbacd, -v220
	v_add_f16_e32 v108, v226, v108
	v_pack_b32_f16 v20, v105, v100
	v_add_f16_e32 v170, v171, v170
	v_add_f16_e32 v171, v111, v221
	;; [unrolled: 1-line block ×3, first 2 shown]
	v_fma_f16 v172, v19, 0x39e9, -v225
	v_add_f16_e32 v171, v222, v171
	v_add_f16_e32 v170, v172, v170
	v_fma_f16 v172, v47, 0xb461, -v232
	v_add_f16_e32 v171, v224, v171
	v_add_f16_e32 v172, v110, v172
	;; [unrolled: 1-line block ×4, first 2 shown]
	v_fma_f16 v173, v18, 0xbbdd, -v228
	v_add_f16_e32 v171, v229, v171
	v_add_f16_e32 v170, v173, v170
	v_fma_f16 v173, v48, 0x39e9, -v234
	v_add_f16_e32 v171, v230, v171
	v_add_f16_e32 v172, v173, v172
	v_fma_f16 v173, v46, 0x3722, -v235
	v_add_f16_e32 v169, v169, v171
	v_fma_f16 v171, v45, 0xbbdd, -v238
	v_add_f16_e32 v172, v173, v172
	v_add_f16_e32 v167, v167, v169
	v_fma_f16 v169, v53, 0xbbdd, -v241
	v_fma_f16 v53, v48, 0xb8d2, -v121
	;; [unrolled: 1-line block ×3, first 2 shown]
	v_add_f16_e32 v171, v171, v172
	v_add_f16_e32 v172, v111, v236
	;; [unrolled: 1-line block ×5, first 2 shown]
	v_fma_f16 v173, v19, 0x2de8, -v239
	v_add_f16_e32 v172, v237, v172
	v_add_f16_e32 v111, v124, v111
	;; [unrolled: 1-line block ×8, first 2 shown]
	v_fma_f16 v165, v47, 0x2de8, -v240
	v_fma_f16 v47, v47, 0x3b76, -v143
	v_add_f16_e32 v145, v145, v168
	v_add_f16_e32 v156, v156, v164
	;; [unrolled: 1-line block ×3, first 2 shown]
	v_fma_f16 v164, v48, 0xb461, -v166
	v_add_f16_e32 v47, v110, v47
	v_fma_f16 v48, v48, 0x3722, -v139
	v_add_f16_e32 v155, v155, v156
	v_add_f16_e32 v165, v169, v165
	v_fma_f16 v156, v46, 0x3b76, -v163
	v_add_f16_e32 v47, v52, v47
	v_fma_f16 v46, v46, 0x2de8, -v114
	v_add_f16_e32 v151, v151, v155
	v_add_f16_e32 v164, v164, v165
	v_fma_f16 v155, v45, 0x3722, -v160
	v_add_f16_e32 v47, v48, v47
	v_add_f16_e32 v52, v125, v55
	;; [unrolled: 1-line block ×10, first 2 shown]
	v_fma_f16 v49, v18, 0x3722, -v117
	v_add_f16_e32 v50, v112, v50
	v_fma_f16 v47, v22, 0xbacd, -v63
	v_add_f16_e32 v155, v157, v155
	v_add_f16_e32 v154, v154, v156
	v_pack_b32_f16 v51, v60, v59
	v_add_f16_e32 v132, v132, v155
	v_add_f16_e32 v141, v141, v154
	;; [unrolled: 1-line block ×5, first 2 shown]
	v_fma_f16 v132, v19, 0x3b76, -v135
	v_fma_f16 v19, v19, 0xb8d2, -v107
	v_add_f16_e32 v129, v129, v131
	v_fma_f16 v131, v45, 0x39e9, -v138
	v_add_f16_e32 v141, v150, v141
	;; [unrolled: 2-line block ×3, first 2 shown]
	v_add_f16_e32 v131, v131, v140
	v_add_f16_e32 v138, v146, v141
	;; [unrolled: 1-line block ×3, first 2 shown]
	v_fma_f16 v134, v18, 0x2de8, -v136
	v_fma_f16 v18, v18, 0xbacd, -v104
	v_add_f16_e32 v131, v132, v131
	v_add_f16_e32 v132, v142, v138
	;; [unrolled: 1-line block ×4, first 2 shown]
	v_fma_f16 v46, v22, 0x3b76, -v120
	v_add_f16_e32 v131, v134, v131
	v_add_f16_e32 v48, v99, v50
	;; [unrolled: 1-line block ×4, first 2 shown]
	v_fma_f16 v18, v22, 0xbbdd, -v106
	v_add_f16_e32 v19, v47, v131
	v_lshl_add_u32 v22, v90, 2, v88
	v_pack_b32_f16 v47, v103, v101
	v_add_f16_e32 v45, v46, v45
	v_add_f16_e32 v46, v102, v48
	v_pack_b32_f16 v48, v62, v61
	v_pack_b32_f16 v49, v89, v64
	;; [unrolled: 1-line block ×3, first 2 shown]
	v_add_f16_e32 v21, v115, v54
	v_add_f16_e32 v17, v18, v17
	ds_write2_b32 v22, v15, v47 offset1:1
	ds_write2_b32 v22, v49, v48 offset0:2 offset1:3
	ds_write2_b32 v22, v51, v50 offset0:4 offset1:5
	;; [unrolled: 1-line block ×3, first 2 shown]
	v_pack_b32_f16 v15, v98, v97
	v_pack_b32_f16 v18, v170, v108
	;; [unrolled: 1-line block ×7, first 2 shown]
	ds_write2_b32 v22, v16, v15 offset0:8 offset1:9
	ds_write2_b32 v22, v20, v18 offset0:10 offset1:11
	;; [unrolled: 1-line block ×4, first 2 shown]
	ds_write_b32 v22, v17 offset:64
.LBB0_13:
	s_or_b32 exec_lo, exec_lo, s0
	s_waitcnt lgkmcnt(0)
	s_barrier
	buffer_gl0_inv
	ds_read2_b32 v[16:17], v65 offset1:17
	ds_read2_b32 v[18:19], v65 offset0:102 offset1:119
	ds_read2_b32 v[20:21], v65 offset0:238 offset1:255
	;; [unrolled: 1-line block ×3, first 2 shown]
	v_add_nc_u32_e32 v15, 0x400, v65
	ds_read2_b32 v[45:46], v65 offset0:34 offset1:51
	ds_read2_b32 v[47:48], v65 offset0:170 offset1:187
	;; [unrolled: 1-line block ×6, first 2 shown]
	ds_read_b32 v22, v65 offset:1360
	s_waitcnt lgkmcnt(0)
	s_barrier
	buffer_gl0_inv
	s_mov_b32 s4, 0x16f26017
	s_mov_b32 s5, 0x3f66f260
	v_lshrrev_b32_e32 v43, 16, v16
	v_lshrrev_b32_e32 v57, 16, v19
	;; [unrolled: 1-line block ×5, first 2 shown]
	v_mul_f16_sdwa v105, v23, v19 dst_sel:DWORD dst_unused:UNUSED_PAD src0_sel:WORD_1 src1_sel:DWORD
	v_mul_f16_sdwa v103, v23, v57 dst_sel:DWORD dst_unused:UNUSED_PAD src0_sel:WORD_1 src1_sel:DWORD
	;; [unrolled: 1-line block ×3, first 2 shown]
	v_lshrrev_b32_e32 v63, 16, v42
	v_lshrrev_b32_e32 v88, 16, v47
	v_fma_f16 v57, v23, v57, -v105
	v_fmac_f16_e32 v103, v23, v19
	v_mul_f16_sdwa v19, v24, v20 dst_sel:DWORD dst_unused:UNUSED_PAD src0_sel:WORD_1 src1_sel:DWORD
	v_mul_f16_sdwa v105, v23, v60 dst_sel:DWORD dst_unused:UNUSED_PAD src0_sel:WORD_1 src1_sel:DWORD
	v_fmac_f16_e32 v107, v24, v20
	v_mul_f16_sdwa v20, v23, v41 dst_sel:DWORD dst_unused:UNUSED_PAD src0_sel:WORD_1 src1_sel:DWORD
	v_lshrrev_b32_e32 v89, 16, v49
	v_fma_f16 v19, v24, v58, -v19
	v_mul_f16_sdwa v58, v24, v61 dst_sel:DWORD dst_unused:UNUSED_PAD src0_sel:WORD_1 src1_sel:DWORD
	v_fmac_f16_e32 v105, v23, v41
	v_mul_f16_sdwa v41, v24, v21 dst_sel:DWORD dst_unused:UNUSED_PAD src0_sel:WORD_1 src1_sel:DWORD
	v_fma_f16 v20, v23, v60, -v20
	v_mul_f16_sdwa v23, v33, v63 dst_sel:DWORD dst_unused:UNUSED_PAD src0_sel:WORD_1 src1_sel:DWORD
	v_fmac_f16_e32 v58, v24, v21
	v_mul_f16_sdwa v21, v33, v42 dst_sel:DWORD dst_unused:UNUSED_PAD src0_sel:WORD_1 src1_sel:DWORD
	v_lshrrev_b32_e32 v90, 16, v50
	v_fma_f16 v24, v24, v61, -v41
	v_mul_f16_sdwa v41, v34, v89 dst_sel:DWORD dst_unused:UNUSED_PAD src0_sel:WORD_1 src1_sel:DWORD
	v_fmac_f16_e32 v23, v33, v42
	v_mul_f16_sdwa v42, v34, v49 dst_sel:DWORD dst_unused:UNUSED_PAD src0_sel:WORD_1 src1_sel:DWORD
	v_fma_f16 v21, v33, v63, -v21
	v_mul_f16_sdwa v33, v31, v88 dst_sel:DWORD dst_unused:UNUSED_PAD src0_sel:WORD_1 src1_sel:DWORD
	v_lshrrev_b32_e32 v97, 16, v48
	v_lshrrev_b32_e32 v98, 16, v53
	v_fmac_f16_e32 v41, v34, v49
	v_mul_f16_sdwa v49, v31, v47 dst_sel:DWORD dst_unused:UNUSED_PAD src0_sel:WORD_1 src1_sel:DWORD
	v_fma_f16 v34, v34, v89, -v42
	v_mul_f16_sdwa v42, v32, v90 dst_sel:DWORD dst_unused:UNUSED_PAD src0_sel:WORD_1 src1_sel:DWORD
	v_fmac_f16_e32 v33, v31, v47
	v_mul_f16_sdwa v47, v32, v50 dst_sel:DWORD dst_unused:UNUSED_PAD src0_sel:WORD_1 src1_sel:DWORD
	v_lshrrev_b32_e32 v100, 16, v55
	v_fma_f16 v31, v31, v88, -v49
	v_mul_f16_sdwa v49, v29, v97 dst_sel:DWORD dst_unused:UNUSED_PAD src0_sel:WORD_1 src1_sel:DWORD
	v_fmac_f16_e32 v42, v32, v50
	v_mul_f16_sdwa v50, v29, v48 dst_sel:DWORD dst_unused:UNUSED_PAD src0_sel:WORD_1 src1_sel:DWORD
	v_fma_f16 v32, v32, v90, -v47
	v_mul_f16_sdwa v47, v30, v98 dst_sel:DWORD dst_unused:UNUSED_PAD src0_sel:WORD_1 src1_sel:DWORD
	v_lshrrev_b32_e32 v101, 16, v54
	v_lshrrev_b32_e32 v104, 16, v56
	v_fmac_f16_e32 v49, v29, v48
	v_mul_f16_sdwa v48, v30, v53 dst_sel:DWORD dst_unused:UNUSED_PAD src0_sel:WORD_1 src1_sel:DWORD
	v_fma_f16 v29, v29, v97, -v50
	v_mul_f16_sdwa v50, v27, v100 dst_sel:DWORD dst_unused:UNUSED_PAD src0_sel:WORD_1 src1_sel:DWORD
	v_fmac_f16_e32 v47, v30, v53
	v_mul_f16_sdwa v53, v27, v55 dst_sel:DWORD dst_unused:UNUSED_PAD src0_sel:WORD_1 src1_sel:DWORD
	v_lshrrev_b32_e32 v106, 16, v22
	v_fma_f16 v30, v30, v98, -v48
	v_mul_f16_sdwa v48, v28, v101 dst_sel:DWORD dst_unused:UNUSED_PAD src0_sel:WORD_1 src1_sel:DWORD
	v_fmac_f16_e32 v50, v27, v55
	v_mul_f16_sdwa v55, v28, v54 dst_sel:DWORD dst_unused:UNUSED_PAD src0_sel:WORD_1 src1_sel:DWORD
	v_fma_f16 v27, v27, v100, -v53
	v_mul_f16_sdwa v53, v25, v104 dst_sel:DWORD dst_unused:UNUSED_PAD src0_sel:WORD_1 src1_sel:DWORD
	v_fmac_f16_e32 v48, v28, v54
	v_mul_f16_sdwa v54, v25, v56 dst_sel:DWORD dst_unused:UNUSED_PAD src0_sel:WORD_1 src1_sel:DWORD
	;; [unrolled: 4-line block ×3, first 2 shown]
	v_fma_f16 v25, v25, v104, -v54
	v_add_f16_e32 v54, v103, v107
	v_fmac_f16_e32 v55, v26, v22
	v_add_f16_e32 v22, v16, v103
	v_fma_f16 v26, v26, v106, -v56
	v_add_f16_e32 v56, v57, v19
	v_fma_f16 v16, -0.5, v54, v16
	v_sub_f16_e32 v54, v57, v19
	v_add_f16_e32 v57, v43, v57
	v_lshrrev_b32_e32 v59, 16, v17
	v_fmac_f16_e32 v43, -0.5, v56
	v_sub_f16_e32 v56, v103, v107
	v_fmamk_f16 v60, v54, 0xbaee, v16
	v_fmac_f16_e32 v16, 0x3aee, v54
	v_add_f16_e32 v19, v57, v19
	v_add_f16_e32 v54, v105, v58
	v_fmamk_f16 v57, v56, 0x3aee, v43
	v_fmac_f16_e32 v43, 0xbaee, v56
	v_add_f16_e32 v56, v20, v24
	v_add_f16_e32 v61, v17, v105
	v_fmac_f16_e32 v17, -0.5, v54
	v_sub_f16_e32 v54, v20, v24
	v_add_f16_e32 v20, v59, v20
	v_fmac_f16_e32 v59, -0.5, v56
	v_sub_f16_e32 v56, v105, v58
	v_lshrrev_b32_e32 v62, 16, v45
	v_add_f16_e32 v61, v61, v58
	v_fmamk_f16 v58, v54, 0xbaee, v17
	v_fmac_f16_e32 v17, 0x3aee, v54
	v_add_f16_e32 v20, v20, v24
	v_add_f16_e32 v24, v23, v41
	v_fmamk_f16 v54, v56, 0x3aee, v59
	v_fmac_f16_e32 v59, 0xbaee, v56
	v_add_f16_e32 v56, v21, v34
	v_add_f16_e32 v63, v45, v23
	v_fma_f16 v24, -0.5, v24, v45
	v_sub_f16_e32 v45, v21, v34
	v_add_f16_e32 v21, v62, v21
	v_fmac_f16_e32 v62, -0.5, v56
	v_sub_f16_e32 v23, v23, v41
	v_lshrrev_b32_e32 v64, 16, v46
	v_add_f16_e32 v63, v63, v41
	v_fmamk_f16 v41, v45, 0xbaee, v24
	v_fmac_f16_e32 v24, 0x3aee, v45
	v_add_f16_e32 v21, v21, v34
	v_add_f16_e32 v34, v33, v42
	v_fmamk_f16 v45, v23, 0x3aee, v62
	v_fmac_f16_e32 v62, 0xbaee, v23
	v_add_f16_e32 v23, v31, v32
	v_add_f16_e32 v56, v46, v33
	v_fmac_f16_e32 v46, -0.5, v34
	v_sub_f16_e32 v34, v31, v32
	v_add_f16_e32 v31, v64, v31
	v_fmac_f16_e32 v64, -0.5, v23
	v_sub_f16_e32 v23, v33, v42
	v_lshrrev_b32_e32 v96, 16, v51
	v_fmamk_f16 v33, v34, 0xbaee, v46
	v_fmac_f16_e32 v46, 0x3aee, v34
	v_add_f16_e32 v31, v31, v32
	v_add_f16_e32 v32, v49, v47
	v_fmamk_f16 v34, v23, 0x3aee, v64
	v_fmac_f16_e32 v64, 0xbaee, v23
	v_add_f16_e32 v23, v29, v30
	v_add_f16_e32 v56, v56, v42
	;; [unrolled: 1-line block ×3, first 2 shown]
	v_fma_f16 v32, -0.5, v32, v51
	v_sub_f16_e32 v51, v29, v30
	v_add_f16_e32 v29, v96, v29
	v_fmac_f16_e32 v96, -0.5, v23
	v_sub_f16_e32 v23, v49, v47
	v_lshrrev_b32_e32 v99, 16, v52
	v_add_f16_e32 v42, v42, v47
	v_add_f16_e32 v29, v29, v30
	;; [unrolled: 1-line block ×3, first 2 shown]
	v_fmamk_f16 v49, v23, 0x3aee, v96
	v_fmac_f16_e32 v96, 0xbaee, v23
	v_add_f16_e32 v23, v27, v28
	v_fmamk_f16 v47, v51, 0xbaee, v32
	v_fmac_f16_e32 v32, 0x3aee, v51
	v_add_f16_e32 v51, v52, v50
	v_fmac_f16_e32 v52, -0.5, v30
	v_sub_f16_e32 v30, v27, v28
	v_add_f16_e32 v27, v99, v27
	v_fmac_f16_e32 v99, -0.5, v23
	v_sub_f16_e32 v23, v50, v48
	v_lshrrev_b32_e32 v102, 16, v18
	v_add_f16_e32 v51, v51, v48
	v_fmamk_f16 v48, v30, 0xbaee, v52
	v_fmac_f16_e32 v52, 0x3aee, v30
	v_add_f16_e32 v27, v27, v28
	v_add_f16_e32 v28, v53, v55
	v_fmamk_f16 v30, v23, 0x3aee, v99
	v_fmac_f16_e32 v99, 0xbaee, v23
	v_add_f16_e32 v23, v25, v26
	v_add_f16_e32 v22, v22, v107
	;; [unrolled: 1-line block ×3, first 2 shown]
	v_fmac_f16_e32 v18, -0.5, v28
	v_sub_f16_e32 v28, v25, v26
	v_add_f16_e32 v25, v102, v25
	v_fmac_f16_e32 v102, -0.5, v23
	v_sub_f16_e32 v23, v53, v55
	v_pack_b32_f16 v19, v22, v19
	v_pack_b32_f16 v22, v60, v57
	;; [unrolled: 1-line block ×4, first 2 shown]
	v_add_f16_e32 v25, v25, v26
	v_fmamk_f16 v26, v23, 0x3aee, v102
	v_fmac_f16_e32 v102, 0xbaee, v23
	v_pack_b32_f16 v23, v58, v54
	v_pack_b32_f16 v17, v17, v59
	ds_write2_b32 v65, v19, v22 offset1:17
	ds_write2_b32 v65, v16, v20 offset0:34 offset1:51
	ds_write2_b32 v65, v23, v17 offset0:68 offset1:85
	v_pack_b32_f16 v16, v63, v21
	v_pack_b32_f16 v17, v41, v45
	v_pack_b32_f16 v19, v24, v62
	v_pack_b32_f16 v20, v56, v31
	v_pack_b32_f16 v21, v33, v34
	v_add_f16_e32 v50, v50, v55
	v_fmamk_f16 v53, v28, 0xbaee, v18
	v_pack_b32_f16 v22, v46, v64
	v_fmac_f16_e32 v18, 0x3aee, v28
	v_pack_b32_f16 v23, v42, v29
	v_pack_b32_f16 v24, v47, v49
	ds_write2_b32 v95, v16, v17 offset0:102 offset1:119
	ds_write_b32 v95, v19 offset:544
	ds_write2_b32 v94, v20, v21 offset0:153 offset1:170
	ds_write_b32 v94, v22 offset:748
	ds_write2_b32 v93, v23, v24 offset0:204 offset1:221
	v_pack_b32_f16 v16, v32, v96
	v_pack_b32_f16 v17, v51, v27
	;; [unrolled: 1-line block ×3, first 2 shown]
	v_add_nc_u32_e32 v20, 0x200, v92
	v_pack_b32_f16 v21, v52, v99
	v_pack_b32_f16 v22, v50, v25
	;; [unrolled: 1-line block ×3, first 2 shown]
	v_add_nc_u32_e32 v24, 0x400, v91
	v_pack_b32_f16 v18, v18, v102
	ds_write_b32 v93, v16 offset:952
	ds_write2_b32 v20, v17, v19 offset0:127 offset1:144
	ds_write_b32 v92, v21 offset:1156
	ds_write2_b32 v24, v22, v23 offset0:50 offset1:67
	ds_write_b32 v91, v18 offset:1360
	s_waitcnt lgkmcnt(0)
	s_barrier
	buffer_gl0_inv
	ds_read2_b32 v[16:17], v65 offset0:34 offset1:51
	ds_read2_b32 v[18:19], v65 offset0:102 offset1:119
	;; [unrolled: 1-line block ×9, first 2 shown]
	ds_read_b32 v34, v65 offset:1360
	ds_read2_b32 v[41:42], v65 offset1:17
	s_waitcnt lgkmcnt(10)
	v_lshrrev_b32_e32 v43, 16, v17
	s_waitcnt lgkmcnt(9)
	v_lshrrev_b32_e32 v45, 16, v18
	;; [unrolled: 2-line block ×5, first 2 shown]
	v_mul_f16_sdwa v58, v8, v43 dst_sel:DWORD dst_unused:UNUSED_PAD src0_sel:WORD_1 src1_sel:DWORD
	s_waitcnt lgkmcnt(5)
	v_lshrrev_b32_e32 v49, 16, v26
	v_mul_f16_sdwa v63, v9, v45 dst_sel:DWORD dst_unused:UNUSED_PAD src0_sel:WORD_1 src1_sel:DWORD
	v_mul_f16_sdwa v64, v9, v18 dst_sel:DWORD dst_unused:UNUSED_PAD src0_sel:WORD_1 src1_sel:DWORD
	;; [unrolled: 1-line block ×3, first 2 shown]
	v_fmac_f16_e32 v58, v8, v17
	v_mul_f16_sdwa v17, v8, v17 dst_sel:DWORD dst_unused:UNUSED_PAD src0_sel:WORD_1 src1_sel:DWORD
	s_waitcnt lgkmcnt(4)
	v_lshrrev_b32_e32 v50, 16, v28
	v_lshrrev_b32_e32 v51, 16, v19
	v_mul_f16_sdwa v89, v10, v21 dst_sel:DWORD dst_unused:UNUSED_PAD src0_sel:WORD_1 src1_sel:DWORD
	v_fmac_f16_e32 v63, v9, v18
	v_fma_f16 v8, v8, v43, -v17
	v_fma_f16 v9, v9, v45, -v64
	v_fmac_f16_e32 v88, v10, v21
	v_mul_f16_sdwa v17, v11, v47 dst_sel:DWORD dst_unused:UNUSED_PAD src0_sel:WORD_1 src1_sel:DWORD
	v_mul_f16_sdwa v18, v11, v22 dst_sel:DWORD dst_unused:UNUSED_PAD src0_sel:WORD_1 src1_sel:DWORD
	;; [unrolled: 1-line block ×5, first 2 shown]
	s_waitcnt lgkmcnt(3)
	v_lshrrev_b32_e32 v52, 16, v30
	v_lshrrev_b32_e32 v53, 16, v23
	s_waitcnt lgkmcnt(2)
	v_lshrrev_b32_e32 v54, 16, v32
	v_fmac_f16_e32 v17, v11, v22
	v_fma_f16 v11, v11, v47, -v18
	v_fmac_f16_e32 v21, v39, v25
	v_fma_f16 v18, v39, v48, -v43
	v_fmac_f16_e32 v45, v40, v26
	v_mul_f16_sdwa v22, v40, v26 dst_sel:DWORD dst_unused:UNUSED_PAD src0_sel:WORD_1 src1_sel:DWORD
	v_mul_f16_sdwa v25, v4, v50 dst_sel:DWORD dst_unused:UNUSED_PAD src0_sel:WORD_1 src1_sel:DWORD
	v_mul_f16_sdwa v26, v4, v28 dst_sel:DWORD dst_unused:UNUSED_PAD src0_sel:WORD_1 src1_sel:DWORD
	v_mul_f16_sdwa v39, v5, v51 dst_sel:DWORD dst_unused:UNUSED_PAD src0_sel:WORD_1 src1_sel:DWORD
	v_mul_f16_sdwa v43, v5, v19 dst_sel:DWORD dst_unused:UNUSED_PAD src0_sel:WORD_1 src1_sel:DWORD
	v_lshrrev_b32_e32 v55, 16, v27
	v_lshrrev_b32_e32 v56, 16, v29
	v_fma_f16 v22, v40, v49, -v22
	v_fmac_f16_e32 v25, v4, v28
	v_fma_f16 v4, v4, v50, -v26
	v_fmac_f16_e32 v39, v5, v19
	v_fma_f16 v5, v5, v51, -v43
	v_mul_f16_sdwa v19, v6, v52 dst_sel:DWORD dst_unused:UNUSED_PAD src0_sel:WORD_1 src1_sel:DWORD
	v_mul_f16_sdwa v26, v6, v30 dst_sel:DWORD dst_unused:UNUSED_PAD src0_sel:WORD_1 src1_sel:DWORD
	;; [unrolled: 1-line block ×5, first 2 shown]
	v_lshrrev_b32_e32 v57, 16, v20
	v_lshrrev_b32_e32 v59, 16, v31
	;; [unrolled: 1-line block ×3, first 2 shown]
	v_fmac_f16_e32 v19, v6, v30
	v_fma_f16 v6, v6, v52, -v26
	v_fmac_f16_e32 v28, v7, v23
	v_fma_f16 v7, v7, v53, -v40
	v_fmac_f16_e32 v43, v37, v32
	v_mul_f16_sdwa v23, v37, v32 dst_sel:DWORD dst_unused:UNUSED_PAD src0_sel:WORD_1 src1_sel:DWORD
	v_mul_f16_sdwa v26, v38, v55 dst_sel:DWORD dst_unused:UNUSED_PAD src0_sel:WORD_1 src1_sel:DWORD
	;; [unrolled: 1-line block ×5, first 2 shown]
	v_lshrrev_b32_e32 v61, 16, v33
	s_waitcnt lgkmcnt(1)
	v_lshrrev_b32_e32 v62, 16, v34
	v_fma_f16 v23, v37, v54, -v23
	v_fmac_f16_e32 v26, v38, v27
	v_fma_f16 v27, v38, v55, -v30
	v_fmac_f16_e32 v32, v0, v29
	v_fma_f16 v0, v0, v56, -v40
	v_mul_f16_sdwa v29, v1, v57 dst_sel:DWORD dst_unused:UNUSED_PAD src0_sel:WORD_1 src1_sel:DWORD
	v_mul_f16_sdwa v30, v1, v20 dst_sel:DWORD dst_unused:UNUSED_PAD src0_sel:WORD_1 src1_sel:DWORD
	;; [unrolled: 1-line block ×5, first 2 shown]
	v_fmac_f16_e32 v29, v1, v20
	v_fma_f16 v1, v1, v57, -v30
	v_fmac_f16_e32 v37, v2, v31
	v_fma_f16 v2, v2, v59, -v38
	v_fmac_f16_e32 v40, v3, v24
	v_mul_f16_sdwa v20, v3, v24 dst_sel:DWORD dst_unused:UNUSED_PAD src0_sel:WORD_1 src1_sel:DWORD
	v_mul_f16_sdwa v24, v35, v61 dst_sel:DWORD dst_unused:UNUSED_PAD src0_sel:WORD_1 src1_sel:DWORD
	;; [unrolled: 1-line block ×5, first 2 shown]
	v_fma_f16 v10, v10, v46, -v89
	v_fma_f16 v3, v3, v60, -v20
	v_fmac_f16_e32 v24, v35, v33
	v_fma_f16 v20, v35, v61, -v30
	v_fmac_f16_e32 v31, v36, v34
	v_fma_f16 v30, v36, v62, -v38
	v_add_f16_e32 v33, v58, v45
	v_add_f16_e32 v34, v8, v22
	v_sub_f16_e32 v8, v8, v22
	v_add_f16_e32 v22, v63, v21
	v_add_f16_e32 v36, v9, v18
	v_sub_f16_e32 v35, v58, v45
	v_sub_f16_e32 v21, v63, v21
	v_sub_f16_e32 v9, v9, v18
	v_add_f16_e32 v18, v88, v17
	v_add_f16_e32 v38, v10, v11
	v_sub_f16_e32 v17, v17, v88
	v_sub_f16_e32 v10, v11, v10
	v_add_f16_e32 v11, v22, v33
	v_add_f16_e32 v45, v36, v34
	v_sub_f16_e32 v46, v22, v33
	v_sub_f16_e32 v47, v36, v34
	;; [unrolled: 1-line block ×6, first 2 shown]
	v_add_f16_e32 v48, v17, v21
	v_add_f16_e32 v49, v10, v9
	v_sub_f16_e32 v50, v17, v21
	v_sub_f16_e32 v51, v10, v9
	;; [unrolled: 1-line block ×3, first 2 shown]
	v_add_f16_e32 v11, v18, v11
	v_add_f16_e32 v18, v38, v45
	v_sub_f16_e32 v9, v9, v8
	v_sub_f16_e32 v17, v35, v17
	;; [unrolled: 1-line block ×3, first 2 shown]
	v_add_f16_e32 v35, v48, v35
	v_add_f16_e32 v8, v49, v8
	s_waitcnt lgkmcnt(0)
	v_add_f16_e32 v38, v41, v11
	v_add_f16_sdwa v41, v41, v18 dst_sel:DWORD dst_unused:UNUSED_PAD src0_sel:WORD_1 src1_sel:DWORD
	v_mul_f16_e32 v33, 0x3a52, v33
	v_mul_f16_e32 v34, 0x3a52, v34
	;; [unrolled: 1-line block ×8, first 2 shown]
	v_fmamk_f16 v11, v11, 0xbcab, v38
	v_fmamk_f16 v18, v18, 0xbcab, v41
	;; [unrolled: 1-line block ×4, first 2 shown]
	v_fma_f16 v45, v46, 0x39e0, -v45
	v_fma_f16 v48, v47, 0x39e0, -v48
	;; [unrolled: 1-line block ×4, first 2 shown]
	v_fmamk_f16 v46, v17, 0xb574, v49
	v_fmamk_f16 v47, v10, 0xb574, v50
	v_fma_f16 v17, v17, 0x3574, -v51
	v_fma_f16 v10, v10, 0x3574, -v52
	;; [unrolled: 1-line block ×4, first 2 shown]
	v_add_f16_e32 v22, v22, v11
	v_add_f16_e32 v36, v36, v18
	;; [unrolled: 1-line block ×6, first 2 shown]
	v_fmac_f16_e32 v46, 0xb70e, v35
	v_fmac_f16_e32 v47, 0xb70e, v8
	;; [unrolled: 1-line block ×6, first 2 shown]
	v_add_f16_e32 v8, v47, v22
	v_sub_f16_e32 v33, v36, v46
	v_add_f16_e32 v34, v10, v11
	v_sub_f16_e32 v35, v18, v17
	v_sub_f16_e32 v10, v11, v10
	v_add_f16_e32 v11, v17, v18
	v_sub_f16_e32 v17, v22, v47
	v_add_f16_e32 v18, v46, v36
	v_add_f16_e32 v22, v25, v26
	;; [unrolled: 1-line block ×3, first 2 shown]
	v_sub_f16_e32 v25, v25, v26
	v_sub_f16_e32 v4, v4, v27
	v_add_f16_e32 v26, v39, v43
	v_add_f16_e32 v27, v5, v23
	v_sub_f16_e32 v39, v39, v43
	v_sub_f16_e32 v5, v5, v23
	v_add_f16_e32 v23, v19, v28
	v_add_f16_e32 v43, v6, v7
	;; [unrolled: 4-line block ×3, first 2 shown]
	v_sub_f16_e32 v49, v45, v9
	v_add_f16_e32 v50, v21, v48
	v_add_f16_e32 v9, v9, v45
	v_sub_f16_e32 v21, v48, v21
	v_sub_f16_e32 v45, v26, v22
	;; [unrolled: 1-line block ×7, first 2 shown]
	v_add_f16_e32 v47, v19, v39
	v_add_f16_e32 v48, v6, v5
	v_sub_f16_e32 v51, v19, v39
	v_sub_f16_e32 v52, v6, v5
	;; [unrolled: 1-line block ×3, first 2 shown]
	v_add_f16_e32 v7, v23, v7
	v_add_f16_e32 v23, v43, v28
	v_sub_f16_e32 v5, v5, v4
	v_sub_f16_e32 v19, v25, v19
	;; [unrolled: 1-line block ×3, first 2 shown]
	v_add_f16_e32 v25, v47, v25
	v_add_f16_e32 v4, v48, v4
	;; [unrolled: 1-line block ×3, first 2 shown]
	v_add_f16_sdwa v42, v42, v23 dst_sel:DWORD dst_unused:UNUSED_PAD src0_sel:WORD_1 src1_sel:DWORD
	v_mul_f16_e32 v22, 0x3a52, v22
	v_mul_f16_e32 v36, 0x3a52, v36
	;; [unrolled: 1-line block ×8, first 2 shown]
	v_fmamk_f16 v7, v7, 0xbcab, v28
	v_fmamk_f16 v23, v23, 0xbcab, v42
	;; [unrolled: 1-line block ×4, first 2 shown]
	v_fma_f16 v43, v45, 0x39e0, -v43
	v_fma_f16 v47, v46, 0x39e0, -v47
	;; [unrolled: 1-line block ×4, first 2 shown]
	v_fmamk_f16 v45, v19, 0xb574, v48
	v_fmamk_f16 v46, v6, 0xb574, v51
	v_fma_f16 v19, v19, 0x3574, -v52
	v_fma_f16 v6, v6, 0x3574, -v53
	;; [unrolled: 1-line block ×4, first 2 shown]
	v_add_f16_e32 v26, v26, v7
	v_add_f16_e32 v27, v27, v23
	;; [unrolled: 1-line block ×5, first 2 shown]
	v_fmac_f16_e32 v45, 0xb70e, v25
	v_fmac_f16_e32 v46, 0xb70e, v4
	;; [unrolled: 1-line block ×4, first 2 shown]
	v_add_f16_e32 v47, v47, v23
	v_fmac_f16_e32 v39, 0xb70e, v25
	v_fmac_f16_e32 v5, 0xb70e, v4
	v_add_f16_e32 v4, v46, v26
	v_sub_f16_e32 v23, v27, v45
	v_add_f16_e32 v25, v6, v7
	v_sub_f16_e32 v36, v22, v19
	v_sub_f16_e32 v6, v7, v6
	v_add_f16_e32 v7, v19, v22
	v_sub_f16_e32 v19, v26, v46
	v_add_f16_e32 v22, v45, v27
	v_add_f16_e32 v26, v32, v31
	;; [unrolled: 1-line block ×3, first 2 shown]
	v_sub_f16_e32 v31, v32, v31
	v_sub_f16_e32 v0, v0, v30
	v_add_f16_e32 v30, v29, v24
	v_add_f16_e32 v32, v1, v20
	v_sub_f16_e32 v24, v29, v24
	v_sub_f16_e32 v1, v1, v20
	v_add_f16_e32 v20, v37, v40
	v_add_f16_e32 v29, v2, v3
	;; [unrolled: 4-line block ×3, first 2 shown]
	v_sub_f16_e32 v48, v43, v5
	v_add_f16_e32 v51, v39, v47
	v_add_f16_e32 v5, v5, v43
	v_sub_f16_e32 v39, v47, v39
	v_sub_f16_e32 v43, v30, v26
	;; [unrolled: 1-line block ×7, first 2 shown]
	v_add_f16_e32 v46, v37, v24
	v_add_f16_e32 v47, v2, v1
	v_sub_f16_e32 v52, v37, v24
	v_sub_f16_e32 v53, v2, v1
	;; [unrolled: 1-line block ×3, first 2 shown]
	v_add_f16_e32 v3, v20, v3
	v_add_f16_e32 v20, v29, v40
	v_sub_f16_e32 v1, v1, v0
	v_sub_f16_e32 v37, v31, v37
	v_sub_f16_e32 v2, v0, v2
	v_add_f16_e32 v29, v46, v31
	v_add_f16_e32 v0, v47, v0
	;; [unrolled: 1-line block ×3, first 2 shown]
	v_add_f16_sdwa v16, v16, v20 dst_sel:DWORD dst_unused:UNUSED_PAD src0_sel:WORD_1 src1_sel:DWORD
	v_mul_f16_e32 v26, 0x3a52, v26
	v_mul_f16_e32 v27, 0x3a52, v27
	;; [unrolled: 1-line block ×8, first 2 shown]
	v_fmamk_f16 v3, v3, 0xbcab, v31
	v_fmamk_f16 v20, v20, 0xbcab, v16
	v_fmamk_f16 v30, v30, 0x2b26, v26
	v_fmamk_f16 v32, v32, 0x2b26, v27
	v_fma_f16 v40, v43, 0x39e0, -v40
	v_fma_f16 v46, v45, 0x39e0, -v46
	;; [unrolled: 1-line block ×4, first 2 shown]
	v_fmamk_f16 v43, v37, 0xb574, v47
	v_fmamk_f16 v45, v2, 0xb574, v52
	v_fma_f16 v37, v37, 0x3574, -v53
	v_fma_f16 v2, v2, 0x3574, -v54
	;; [unrolled: 1-line block ×4, first 2 shown]
	v_add_f16_e32 v30, v30, v3
	v_add_f16_e32 v32, v32, v20
	;; [unrolled: 1-line block ×6, first 2 shown]
	v_fmac_f16_e32 v2, 0xb70e, v0
	v_fmac_f16_e32 v37, 0xb70e, v29
	;; [unrolled: 1-line block ×6, first 2 shown]
	v_add_f16_e32 v27, v2, v3
	v_sub_f16_e32 v29, v20, v37
	v_sub_f16_e32 v2, v3, v2
	v_add_f16_e32 v3, v37, v20
	v_pack_b32_f16 v20, v34, v35
	v_pack_b32_f16 v34, v49, v50
	;; [unrolled: 1-line block ×5, first 2 shown]
	v_add_f16_e32 v0, v45, v30
	v_sub_f16_e32 v26, v32, v43
	v_pack_b32_f16 v35, v38, v41
	v_pack_b32_f16 v17, v28, v42
	v_sub_f16_e32 v47, v40, v1
	v_add_f16_e32 v52, v24, v46
	v_add_f16_e32 v1, v1, v40
	v_sub_f16_e32 v24, v46, v24
	v_pack_b32_f16 v4, v4, v23
	v_pack_b32_f16 v18, v25, v36
	v_sub_f16_e32 v30, v30, v45
	v_add_f16_e32 v32, v43, v32
	ds_write2_b32 v65, v20, v34 offset0:102 offset1:153
	v_pack_b32_f16 v20, v48, v51
	v_pack_b32_f16 v5, v5, v39
	ds_write2_b32 v65, v9, v10 offset0:204 offset1:255
	ds_write_b32 v65, v11 offset:1224
	ds_write2_b32 v65, v35, v17 offset1:17
	ds_write2_b32 v109, v4, v18 offset0:51 offset1:102
	ds_write2_b32 v109, v20, v5 offset0:153 offset1:204
	v_pack_b32_f16 v4, v6, v7
	v_pack_b32_f16 v5, v19, v22
	v_add_nc_u32_e32 v6, 0x200, v109
	v_pack_b32_f16 v8, v8, v33
	v_pack_b32_f16 v7, v31, v16
	;; [unrolled: 1-line block ×8, first 2 shown]
	v_add_nc_u32_e32 v11, 0x200, v44
	ds_write2_b32 v6, v4, v5 offset0:127 offset1:178
	ds_write2_b32 v65, v7, v8 offset0:34 offset1:51
	;; [unrolled: 1-line block ×5, first 2 shown]
	s_waitcnt lgkmcnt(0)
	s_barrier
	buffer_gl0_inv
	ds_read2_b32 v[0:1], v65 offset1:21
	s_waitcnt lgkmcnt(0)
	v_lshrrev_b32_e32 v4, 16, v0
	v_lshrrev_b32_e32 v10, 16, v1
	v_mul_f16_sdwa v2, v87, v4 dst_sel:DWORD dst_unused:UNUSED_PAD src0_sel:WORD_1 src1_sel:DWORD
	v_mul_f16_sdwa v11, v86, v10 dst_sel:DWORD dst_unused:UNUSED_PAD src0_sel:WORD_1 src1_sel:DWORD
	v_fmac_f16_e32 v2, v87, v0
	v_mul_f16_sdwa v0, v87, v0 dst_sel:DWORD dst_unused:UNUSED_PAD src0_sel:WORD_1 src1_sel:DWORD
	v_fmac_f16_e32 v11, v86, v1
	v_mul_f16_sdwa v1, v86, v1 dst_sel:DWORD dst_unused:UNUSED_PAD src0_sel:WORD_1 src1_sel:DWORD
	v_cvt_f32_f16_e32 v2, v2
	v_fma_f16 v0, v87, v4, -v0
	v_fma_f16 v1, v86, v10, -v1
	v_cvt_f64_f32_e32 v[2:3], v2
	v_cvt_f32_f16_e32 v0, v0
	v_cvt_f32_f16_e32 v1, v1
	v_cvt_f64_f32_e32 v[4:5], v0
	v_mul_f64 v[2:3], v[2:3], s[4:5]
	v_mul_f64 v[4:5], v[4:5], s[4:5]
	v_and_or_b32 v0, 0x1ff, v3, v2
	v_lshrrev_b32_e32 v2, 8, v3
	v_bfe_u32 v6, v3, 20, 11
	v_cmp_ne_u32_e64 s0, 0, v0
	v_and_or_b32 v4, 0x1ff, v5, v4
	v_lshrrev_b32_e32 v9, 8, v5
	v_bfe_u32 v16, v5, 20, 11
	v_add_nc_u32_e32 v17, 0xfffffc10, v6
	v_cndmask_b32_e64 v0, 0, 1, s0
	v_cmp_ne_u32_e64 s0, 0, v4
	v_cmp_eq_u32_e64 s2, 0x40f, v17
	v_and_or_b32 v2, 0xffe, v2, v0
	v_sub_nc_u32_e32 v0, 0x3f1, v6
	v_cndmask_b32_e64 v4, 0, 1, s0
	v_cvt_f32_f16_e32 v6, v11
	v_or_b32_e32 v7, 0x1000, v2
	v_med3_i32 v0, v0, 0, 13
	v_and_or_b32 v4, 0xffe, v9, v4
	v_sub_nc_u32_e32 v9, 0x3f1, v16
	v_lshl_or_b32 v19, v17, 12, v2
	v_lshrrev_b32_e32 v8, v0, v7
	v_or_b32_e32 v11, 0x1000, v4
	v_med3_i32 v18, v9, 0, 13
	v_lshlrev_b32_e32 v0, v0, v8
	v_lshrrev_b32_e32 v20, v18, v11
	v_cmp_ne_u32_e64 s0, v0, v7
	v_cvt_f64_f32_e32 v[6:7], v6
	v_lshlrev_b32_e32 v18, v18, v20
	v_cndmask_b32_e64 v0, 0, 1, s0
	v_cmp_gt_i32_e64 s0, 1, v17
	v_or_b32_e32 v0, v8, v0
	v_mad_u64_u32 v[8:9], null, s10, v14, 0
	v_cndmask_b32_e64 v19, v19, v0, s0
	v_cmp_ne_u32_e64 s0, v18, v11
	v_add_nc_u32_e32 v18, 0xfffffc10, v16
	v_mov_b32_e32 v0, v9
	v_and_b32_e32 v21, 7, v19
	v_cndmask_b32_e64 v9, 0, 1, s0
	v_lshrrev_b32_e32 v11, 2, v19
	v_lshl_or_b32 v16, v18, 12, v4
	v_mul_f64 v[6:7], v[6:7], s[4:5]
	v_cmp_lt_i32_e64 s0, 5, v21
	v_cmp_eq_u32_e64 s1, 3, v21
	v_or_b32_e32 v9, v20, v9
	s_or_b32 s0, s1, s0
	v_add_co_ci_u32_e64 v11, s0, 0, v11, s0
	v_cmp_gt_i32_e64 s0, 1, v18
	v_cndmask_b32_e64 v16, v16, v9, s0
	v_cmp_ne_u32_e64 s0, 0, v2
	v_and_b32_e32 v19, 7, v16
	v_cndmask_b32_e64 v2, 0, 1, s0
	v_cmp_gt_i32_e64 s0, 31, v17
	v_and_or_b32 v6, 0x1ff, v7, v6
	v_cmp_eq_u32_e64 s1, 3, v19
	v_lshl_or_b32 v20, v2, 9, 0x7c00
	v_cvt_f64_f32_e32 v[1:2], v1
	v_cndmask_b32_e64 v11, 0x7c00, v11, s0
	v_cmp_lt_i32_e64 s0, 5, v19
	v_lshrrev_b32_e32 v19, 16, v3
	s_or_b32 s0, s1, s0
	v_mad_u64_u32 v[9:10], null, s11, v14, v[0:1]
	v_lshrrev_b32_e32 v0, 2, v16
	v_cndmask_b32_e64 v14, v11, v20, s2
	v_bfe_u32 v20, v7, 20, 11
	v_mad_u64_u32 v[10:11], null, s8, v84, 0
	v_add_co_ci_u32_e64 v3, s0, 0, v0, s0
	v_cmp_ne_u32_e64 s0, 0, v6
	v_lshrrev_b32_e32 v6, 8, v7
	v_sub_nc_u32_e32 v21, 0x3f1, v20
	ds_read2_b32 v[16:17], v65 offset0:42 offset1:63
	v_and_or_b32 v14, 0x8000, v19, v14
	v_cndmask_b32_e64 v0, 0, 1, s0
	v_cmp_ne_u32_e64 s0, 0, v4
	v_add_nc_u32_e32 v20, 0xfffffc10, v20
	v_and_b32_e32 v14, 0xffff, v14
	v_and_or_b32 v6, 0xffe, v6, v0
	v_mul_f64 v[0:1], v[1:2], s[4:5]
	v_cndmask_b32_e64 v4, 0, 1, s0
	v_cmp_gt_i32_e64 s0, 31, v18
	v_mov_b32_e32 v2, v11
	v_or_b32_e32 v22, 0x1000, v6
	v_med3_i32 v11, v21, 0, 13
	v_lshl_or_b32 v4, v4, 9, 0x7c00
	v_cndmask_b32_e64 v3, 0x7c00, v3, s0
	v_cmp_eq_u32_e64 s0, 0x40f, v18
	s_waitcnt lgkmcnt(0)
	v_lshrrev_b32_e32 v19, 16, v16
	v_cndmask_b32_e64 v4, v3, v4, s0
	v_mad_u64_u32 v[2:3], null, s9, v84, v[2:3]
	v_lshrrev_b32_e32 v3, 16, v5
	v_lshrrev_b32_e32 v5, v11, v22
	v_and_or_b32 v18, 0x8000, v3, v4
	v_lshlrev_b32_e32 v3, v11, v5
	v_and_or_b32 v0, 0x1ff, v1, v0
	v_mov_b32_e32 v11, v2
	v_lshrrev_b32_e32 v4, 8, v1
	v_bfe_u32 v21, v1, 20, 11
	v_cmp_ne_u32_e64 s0, v3, v22
	v_mul_f16_sdwa v3, v85, v19 dst_sel:DWORD dst_unused:UNUSED_PAD src0_sel:WORD_1 src1_sel:DWORD
	v_lshl_or_b32 v14, v18, 16, v14
	v_lshlrev_b64 v[10:11], 2, v[10:11]
	v_lshrrev_b32_e32 v1, 16, v1
	v_cndmask_b32_e64 v2, 0, 1, s0
	v_cmp_ne_u32_e64 s0, 0, v0
	v_fmac_f16_e32 v3, v85, v16
	v_or_b32_e32 v2, v5, v2
	v_cndmask_b32_e64 v0, 0, 1, s0
	v_lshl_or_b32 v5, v20, 12, v6
	v_cmp_gt_i32_e64 s0, 1, v20
	v_cvt_f32_f16_e32 v22, v3
	v_and_or_b32 v0, 0xffe, v4, v0
	v_sub_nc_u32_e32 v4, 0x3f1, v21
	v_cndmask_b32_e64 v23, v5, v2, s0
	v_lshlrev_b64 v[2:3], 2, v[8:9]
	v_add_nc_u32_e32 v21, 0xfffffc10, v21
	v_or_b32_e32 v24, 0x1000, v0
	v_med3_i32 v25, v4, 0, 13
	v_cvt_f64_f32_e32 v[4:5], v22
	v_and_b32_e32 v8, 7, v23
	v_add_co_u32 v2, s0, s6, v2
	v_lshrrev_b32_e32 v9, v25, v24
	v_add_co_ci_u32_e64 v3, s0, s7, v3, s0
	v_cmp_lt_i32_e64 s0, 5, v8
	v_cmp_eq_u32_e64 s1, 3, v8
	v_lshlrev_b32_e32 v18, v25, v9
	v_mul_f16_sdwa v8, v85, v16 dst_sel:DWORD dst_unused:UNUSED_PAD src0_sel:WORD_1 src1_sel:DWORD
	v_lshrrev_b32_e32 v16, 2, v23
	s_mul_i32 s6, s8, 21
	s_or_b32 s0, s1, s0
	v_cmp_ne_u32_e64 s2, v18, v24
	v_fma_f16 v8, v85, v19, -v8
	v_add_co_ci_u32_e64 v16, s0, 0, v16, s0
	v_cmp_ne_u32_e64 s0, 0, v6
	v_cndmask_b32_e64 v18, 0, 1, s2
	v_cvt_f32_f16_e32 v8, v8
	v_cmp_eq_u32_e64 s2, 0x40f, v20
	v_mul_f64 v[4:5], v[4:5], s[4:5]
	v_cndmask_b32_e64 v6, 0, 1, s0
	v_or_b32_e32 v9, v9, v18
	v_lshl_or_b32 v18, v21, 12, v0
	v_cmp_gt_i32_e64 s0, 1, v21
	v_lshl_or_b32 v6, v6, 9, 0x7c00
	v_cndmask_b32_e64 v18, v18, v9, s0
	v_cvt_f64_f32_e32 v[8:9], v8
	v_cmp_gt_i32_e64 s0, 31, v20
	v_and_b32_e32 v19, 7, v18
	v_cndmask_b32_e64 v16, 0x7c00, v16, s0
	v_add_co_u32 v10, s0, v2, v10
	v_add_co_ci_u32_e64 v11, s0, v3, v11, s0
	v_cmp_lt_i32_e64 s0, 5, v19
	v_cmp_eq_u32_e64 s1, 3, v19
	v_cndmask_b32_e64 v16, v16, v6, s2
	v_lshrrev_b32_e32 v6, 2, v18
	v_and_or_b32 v4, 0x1ff, v5, v4
	v_lshrrev_b32_e32 v18, 16, v7
	s_or_b32 s0, s1, s0
	global_store_dword v[10:11], v14, off
	v_add_co_ci_u32_e64 v19, s0, 0, v6, s0
	v_cmp_ne_u32_e64 s0, 0, v0
	v_mul_f64 v[6:7], v[8:9], s[4:5]
	v_lshrrev_b32_e32 v8, 8, v5
	v_bfe_u32 v9, v5, 20, 11
	v_and_or_b32 v14, 0x8000, v18, v16
	v_cndmask_b32_e64 v0, 0, 1, s0
	v_cmp_ne_u32_e64 s0, 0, v4
	s_mul_i32 s1, s9, 21
	v_sub_nc_u32_e32 v20, 0x3f1, v9
	s_mul_hi_u32 s2, s8, 21
	v_lshl_or_b32 v0, v0, 9, 0x7c00
	v_cndmask_b32_e64 v4, 0, 1, s0
	v_cmp_gt_i32_e64 s0, 31, v21
	v_med3_i32 v20, v20, 0, 13
	v_and_b32_e32 v14, 0xffff, v14
	s_add_i32 s7, s2, s1
	v_and_or_b32 v4, 0xffe, v8, v4
	v_cndmask_b32_e64 v19, 0x7c00, v19, s0
	v_cmp_eq_u32_e64 s0, 0x40f, v21
	v_lshrrev_b32_e32 v8, 16, v17
	s_lshl_b64 s[6:7], s[6:7], 2
	v_or_b32_e32 v21, 0x1000, v4
	v_cndmask_b32_e64 v0, v19, v0, s0
	v_mul_f16_sdwa v19, v83, v8 dst_sel:DWORD dst_unused:UNUSED_PAD src0_sel:WORD_1 src1_sel:DWORD
	v_bfe_u32 v22, v7, 20, 11
	v_lshrrev_b32_e32 v18, v20, v21
	v_and_or_b32 v16, 0x8000, v1, v0
	v_and_or_b32 v0, 0x1ff, v7, v6
	v_fmac_f16_e32 v19, v83, v17
	v_lshlrev_b32_e32 v6, v20, v18
	v_lshrrev_b32_e32 v20, 8, v7
	v_mul_f16_sdwa v17, v83, v17 dst_sel:DWORD dst_unused:UNUSED_PAD src0_sel:WORD_1 src1_sel:DWORD
	v_cmp_ne_u32_e64 s0, 0, v0
	v_cvt_f32_f16_e32 v1, v19
	v_lshl_or_b32 v14, v16, 16, v14
	v_lshrrev_b32_e32 v7, 16, v7
	v_fma_f16 v8, v83, v8, -v17
	v_cndmask_b32_e64 v19, 0, 1, s0
	v_cmp_ne_u32_e64 s0, v6, v21
	v_add_nc_u32_e32 v21, 0xfffffc10, v9
	v_cvt_f64_f32_e32 v[0:1], v1
	v_sub_nc_u32_e32 v9, 0x3f1, v22
	v_and_or_b32 v19, 0xffe, v20, v19
	v_cndmask_b32_e64 v6, 0, 1, s0
	v_cmp_gt_i32_e64 s0, 1, v21
	v_cvt_f32_f16_e32 v8, v8
	v_med3_i32 v9, v9, 0, 13
	v_or_b32_e32 v20, 0x1000, v19
	v_or_b32_e32 v6, v18, v6
	v_lshl_or_b32 v18, v21, 12, v4
	v_lshrrev_b32_e32 v17, v9, v20
	v_cndmask_b32_e64 v6, v18, v6, s0
	v_lshlrev_b32_e32 v16, v9, v17
	v_cvt_f64_f32_e32 v[8:9], v8
	v_and_b32_e32 v18, 7, v6
	v_lshrrev_b32_e32 v6, 2, v6
	v_mul_f64 v[0:1], v[0:1], s[4:5]
	v_cmp_ne_u32_e64 s2, v16, v20
	v_cmp_lt_i32_e64 s0, 5, v18
	v_cmp_eq_u32_e64 s1, 3, v18
	v_add_nc_u32_e32 v18, 0xfffffc10, v22
	v_cndmask_b32_e64 v16, 0, 1, s2
	s_or_b32 s0, s1, s0
	v_lshl_or_b32 v22, v18, 12, v19
	v_add_co_ci_u32_e64 v6, s0, 0, v6, s0
	v_cmp_ne_u32_e64 s0, 0, v4
	v_or_b32_e32 v20, v17, v16
	ds_read2_b32 v[16:17], v65 offset0:84 offset1:105
	v_cndmask_b32_e64 v4, 0, 1, s0
	v_cmp_gt_i32_e64 s0, 31, v21
	v_lshl_or_b32 v4, v4, 9, 0x7c00
	v_cndmask_b32_e64 v6, 0x7c00, v6, s0
	v_cmp_gt_i32_e64 s0, 1, v18
	v_and_or_b32 v0, 0x1ff, v1, v0
	v_bfe_u32 v23, v1, 20, 11
	v_cndmask_b32_e64 v20, v22, v20, s0
	v_cmp_eq_u32_e64 s0, 0x40f, v21
	v_lshrrev_b32_e32 v21, 16, v5
	v_and_b32_e32 v22, 7, v20
	v_cndmask_b32_e64 v6, v6, v4, s0
	v_mul_f64 v[4:5], v[8:9], s[4:5]
	v_cmp_ne_u32_e64 s0, 0, v0
	v_lshrrev_b32_e32 v8, 8, v1
	v_cmp_eq_u32_e64 s1, 3, v22
	v_lshrrev_b32_e32 v9, 2, v20
	s_waitcnt lgkmcnt(0)
	v_lshrrev_b32_e32 v20, 16, v16
	v_cndmask_b32_e64 v0, 0, 1, s0
	v_cmp_lt_i32_e64 s0, 5, v22
	v_and_or_b32 v6, 0x8000, v21, v6
	v_mul_f16_sdwa v24, v82, v20 dst_sel:DWORD dst_unused:UNUSED_PAD src0_sel:WORD_1 src1_sel:DWORD
	v_and_or_b32 v0, 0xffe, v8, v0
	s_or_b32 s0, s1, s0
	v_sub_nc_u32_e32 v8, 0x3f1, v23
	v_add_co_ci_u32_e64 v9, s0, 0, v9, s0
	v_cmp_gt_i32_e64 s0, 31, v18
	v_or_b32_e32 v22, 0x1000, v0
	v_med3_i32 v8, v8, 0, 13
	v_fmac_f16_e32 v24, v82, v16
	v_add_nc_u32_e32 v23, 0xfffffc10, v23
	v_cndmask_b32_e64 v21, 0x7c00, v9, s0
	v_and_or_b32 v4, 0x1ff, v5, v4
	v_cmp_ne_u32_e64 s0, 0, v19
	v_lshrrev_b32_e32 v25, v8, v22
	v_bfe_u32 v27, v5, 20, 11
	v_mul_f16_sdwa v16, v82, v16 dst_sel:DWORD dst_unused:UNUSED_PAD src0_sel:WORD_1 src1_sel:DWORD
	v_cndmask_b32_e64 v19, 0, 1, s0
	v_cmp_ne_u32_e64 s0, 0, v4
	v_lshlrev_b32_e32 v26, v8, v25
	v_cvt_f32_f16_e32 v8, v24
	v_lshrrev_b32_e32 v24, 8, v5
	v_lshl_or_b32 v19, v19, 9, 0x7c00
	v_cndmask_b32_e64 v4, 0, 1, s0
	v_cmp_ne_u32_e64 s0, v26, v22
	v_cvt_f64_f32_e32 v[8:9], v8
	v_lshrrev_b32_e32 v5, 16, v5
	v_and_or_b32 v4, 0xffe, v24, v4
	v_sub_nc_u32_e32 v24, 0x3f1, v27
	v_cndmask_b32_e64 v22, 0, 1, s0
	v_cmp_eq_u32_e64 s0, 0x40f, v18
	v_or_b32_e32 v26, 0x1000, v4
	v_med3_i32 v24, v24, 0, 13
	v_or_b32_e32 v22, v25, v22
	v_lshl_or_b32 v25, v23, 12, v0
	v_cndmask_b32_e64 v18, v21, v19, s0
	v_cmp_gt_i32_e64 s0, 1, v23
	v_lshrrev_b32_e32 v21, v24, v26
	v_and_or_b32 v18, 0x8000, v7, v18
	v_cndmask_b32_e64 v19, v25, v22, s0
	v_lshlrev_b32_e32 v24, v24, v21
	v_and_b32_e32 v22, 0xffff, v6
	v_mul_f64 v[6:7], v[8:9], s[4:5]
	v_and_b32_e32 v25, 7, v19
	v_cmp_ne_u32_e64 s1, v24, v26
	v_add_co_u32 v8, s0, v10, s6
	v_add_co_ci_u32_e64 v9, s0, s7, v11, s0
	v_cmp_lt_i32_e64 s0, 5, v25
	v_cndmask_b32_e64 v11, 0, 1, s1
	v_cmp_eq_u32_e64 s1, 3, v25
	v_lshl_or_b32 v22, v18, 16, v22
	v_lshrrev_b32_e32 v18, 2, v19
	v_fma_f16 v10, v82, v20, -v16
	v_add_nc_u32_e32 v16, 0xfffffc10, v27
	s_or_b32 s0, s1, s0
	v_or_b32_e32 v19, v21, v11
	v_add_co_ci_u32_e64 v18, s0, 0, v18, s0
	v_cmp_ne_u32_e64 s0, 0, v0
	v_cvt_f32_f16_e32 v10, v10
	v_lshl_or_b32 v20, v16, 12, v4
	v_lshrrev_b32_e32 v27, 16, v17
	v_and_or_b32 v6, 0x1ff, v7, v6
	v_cndmask_b32_e64 v0, 0, 1, s0
	v_cmp_gt_i32_e64 s0, 1, v16
	v_cvt_f64_f32_e32 v[10:11], v10
	v_lshrrev_b32_e32 v21, 8, v7
	v_bfe_u32 v24, v7, 20, 11
	v_lshl_or_b32 v0, v0, 9, 0x7c00
	v_cndmask_b32_e64 v19, v20, v19, s0
	v_cmp_gt_i32_e64 s0, 31, v23
	global_store_dword v[8:9], v14, off
	v_and_b32_e32 v20, 7, v19
	v_cndmask_b32_e64 v18, 0x7c00, v18, s0
	v_cmp_ne_u32_e64 s0, 0, v6
	v_lshrrev_b32_e32 v19, 2, v19
	v_cmp_eq_u32_e64 s1, 3, v20
	v_cndmask_b32_e64 v6, 0, 1, s0
	v_cmp_eq_u32_e64 s0, 0x40f, v23
	v_lshrrev_b32_e32 v23, 16, v1
	v_and_or_b32 v6, 0xffe, v21, v6
	v_cndmask_b32_e64 v18, v18, v0, s0
	v_sub_nc_u32_e32 v0, 0x3f1, v24
	v_mul_f64 v[10:11], v[10:11], s[4:5]
	v_cmp_lt_i32_e64 s0, 5, v20
	v_or_b32_e32 v20, 0x1000, v6
	v_and_or_b32 v23, 0x8000, v23, v18
	v_med3_i32 v21, v0, 0, 13
	s_or_b32 s0, s1, s0
	v_add_co_ci_u32_e64 v19, s0, 0, v19, s0
	v_lshrrev_b32_e32 v25, v21, v20
	v_add_co_u32 v0, s0, v8, s6
	v_add_co_ci_u32_e64 v1, s0, s7, v9, s0
	v_lshlrev_b32_e32 v21, v21, v25
	v_cmp_gt_i32_e64 s0, 31, v16
	v_and_b32_e32 v23, 0xffff, v23
	global_store_dword v[0:1], v22, off
	v_cndmask_b32_e64 v26, 0x7c00, v19, s0
	v_cmp_ne_u32_e64 s0, v21, v20
	v_and_or_b32 v10, 0x1ff, v11, v10
	v_mul_f16_sdwa v19, v81, v27 dst_sel:DWORD dst_unused:UNUSED_PAD src0_sel:WORD_1 src1_sel:DWORD
	v_add_nc_u32_e32 v20, 0xfffffc10, v24
	v_lshrrev_b32_e32 v24, 8, v11
	v_cndmask_b32_e64 v18, 0, 1, s0
	v_cmp_ne_u32_e64 s0, 0, v4
	v_fmac_f16_e32 v19, v81, v17
	v_lshl_or_b32 v21, v20, 12, v6
	v_or_b32_e32 v18, v25, v18
	v_cndmask_b32_e64 v4, 0, 1, s0
	v_cmp_ne_u32_e64 s0, 0, v10
	v_bfe_u32 v25, v11, 20, 11
	v_cvt_f32_f16_e32 v19, v19
	v_lshrrev_b32_e32 v11, 16, v11
	v_lshl_or_b32 v4, v4, 9, 0x7c00
	v_cndmask_b32_e64 v10, 0, 1, s0
	v_cmp_gt_i32_e64 s0, 1, v20
	v_and_or_b32 v10, 0xffe, v24, v10
	v_sub_nc_u32_e32 v24, 0x3f1, v25
	v_cndmask_b32_e64 v21, v21, v18, s0
	v_cvt_f64_f32_e32 v[18:19], v19
	v_cmp_eq_u32_e64 s0, 0x40f, v16
	v_or_b32_e32 v29, 0x1000, v10
	v_med3_i32 v24, v24, 0, 13
	v_and_b32_e32 v28, 7, v21
	v_mul_f16_sdwa v16, v81, v17 dst_sel:DWORD dst_unused:UNUSED_PAD src0_sel:WORD_1 src1_sel:DWORD
	v_cndmask_b32_e64 v4, v26, v4, s0
	v_lshrrev_b32_e32 v26, v24, v29
	v_cmp_lt_i32_e64 s0, 5, v28
	v_cmp_eq_u32_e64 s1, 3, v28
	v_and_or_b32 v28, 0x8000, v5, v4
	v_lshrrev_b32_e32 v4, 2, v21
	v_fma_f16 v5, v81, v27, -v16
	v_lshlrev_b32_e32 v16, v24, v26
	s_or_b32 s0, s1, s0
	v_lshl_or_b32 v14, v28, 16, v23
	v_add_co_ci_u32_e64 v21, s0, 0, v4, s0
	v_cmp_ne_u32_e64 s0, v16, v29
	v_cvt_f32_f16_e32 v17, v5
	v_mul_f64 v[4:5], v[18:19], s[4:5]
	v_add_nc_u32_e32 v18, 0xfffffc10, v25
	v_cndmask_b32_e64 v24, 0, 1, s0
	v_cmp_ne_u32_e64 s0, 0, v6
	v_cvt_f64_f32_e32 v[16:17], v17
	v_or_b32_e32 v19, v26, v24
	v_cndmask_b32_e64 v6, 0, 1, s0
	v_cmp_gt_i32_e64 s0, 31, v20
	v_lshl_or_b32 v24, v18, 12, v10
	v_lshl_or_b32 v6, v6, 9, 0x7c00
	v_cndmask_b32_e64 v21, 0x7c00, v21, s0
	v_cmp_gt_i32_e64 s0, 1, v18
	v_cndmask_b32_e64 v19, v24, v19, s0
	v_cmp_eq_u32_e64 s0, 0x40f, v20
	v_and_or_b32 v4, 0x1ff, v5, v4
	v_and_b32_e32 v8, 7, v19
	v_cndmask_b32_e64 v20, v21, v6, s0
	v_lshrrev_b32_e32 v21, 16, v7
	ds_read2_b32 v[6:7], v65 offset0:126 offset1:147
	v_cmp_ne_u32_e64 s2, 0, v4
	v_cmp_lt_i32_e64 s0, 5, v8
	v_cmp_eq_u32_e64 s1, 3, v8
	v_mul_f64 v[8:9], v[16:17], s[4:5]
	v_lshrrev_b32_e32 v16, 2, v19
	v_cndmask_b32_e64 v4, 0, 1, s2
	v_lshrrev_b32_e32 v17, 8, v5
	v_bfe_u32 v19, v5, 20, 11
	s_or_b32 s0, s1, s0
	v_and_or_b32 v20, 0x8000, v21, v20
	v_add_co_ci_u32_e64 v16, s0, 0, v16, s0
	v_and_or_b32 v4, 0xffe, v17, v4
	v_sub_nc_u32_e32 v17, 0x3f1, v19
	v_cmp_ne_u32_e64 s0, 0, v10
	v_or_b32_e32 v22, 0x1000, v4
	v_med3_i32 v17, v17, 0, 13
	s_waitcnt lgkmcnt(0)
	v_lshrrev_b32_e32 v21, 16, v6
	v_cndmask_b32_e64 v10, 0, 1, s0
	v_cmp_gt_i32_e64 s0, 31, v18
	v_lshrrev_b32_e32 v24, v17, v22
	v_mul_f16_sdwa v23, v80, v21 dst_sel:DWORD dst_unused:UNUSED_PAD src0_sel:WORD_1 src1_sel:DWORD
	v_lshl_or_b32 v10, v10, 9, 0x7c00
	v_cndmask_b32_e64 v16, 0x7c00, v16, s0
	v_and_or_b32 v8, 0x1ff, v9, v8
	v_cmp_eq_u32_e64 s0, 0x40f, v18
	v_fmac_f16_e32 v23, v80, v6
	v_lshlrev_b32_e32 v18, v17, v24
	v_bfe_u32 v25, v9, 20, 11
	v_mul_f16_sdwa v6, v80, v6 dst_sel:DWORD dst_unused:UNUSED_PAD src0_sel:WORD_1 src1_sel:DWORD
	v_cndmask_b32_e64 v10, v16, v10, s0
	v_cmp_ne_u32_e64 s0, 0, v8
	v_cvt_f32_f16_e32 v16, v23
	v_lshrrev_b32_e32 v23, 8, v9
	v_fma_f16 v6, v80, v21, -v6
	v_and_or_b32 v10, 0x8000, v11, v10
	v_cndmask_b32_e64 v8, 0, 1, s0
	v_cmp_ne_u32_e64 s0, v18, v22
	v_cvt_f64_f32_e32 v[16:17], v16
	v_add_nc_u32_e32 v22, 0xfffffc10, v19
	v_sub_nc_u32_e32 v19, 0x3f1, v25
	v_and_or_b32 v8, 0xffe, v23, v8
	v_cndmask_b32_e64 v18, 0, 1, s0
	v_and_b32_e32 v11, 0xffff, v20
	v_lshl_or_b32 v23, v22, 12, v4
	v_med3_i32 v19, v19, 0, 13
	v_cmp_gt_i32_e64 s0, 1, v22
	v_or_b32_e32 v18, v24, v18
	v_or_b32_e32 v24, 0x1000, v8
	v_cvt_f32_f16_e32 v6, v6
	v_add_nc_u32_e32 v21, 0xfffffc10, v25
	v_cndmask_b32_e64 v18, v23, v18, s0
	v_lshrrev_b32_e32 v20, v19, v24
	v_add_co_u32 v0, s0, v0, s6
	v_add_co_ci_u32_e64 v1, s0, s7, v1, s0
	v_lshlrev_b32_e32 v19, v19, v20
	v_and_b32_e32 v26, 7, v18
	v_lshl_or_b32 v23, v10, 16, v11
	v_mul_f64 v[10:11], v[16:17], s[4:5]
	v_add_co_u32 v16, s0, v0, s6
	v_cmp_ne_u32_e64 s1, v19, v24
	v_add_co_ci_u32_e64 v17, s0, s7, v1, s0
	v_cmp_lt_i32_e64 s0, 5, v26
	v_lshrrev_b32_e32 v24, 2, v18
	v_cndmask_b32_e64 v19, 0, 1, s1
	v_cmp_eq_u32_e64 s1, 3, v26
	v_lshl_or_b32 v25, v21, 12, v8
	global_store_dword v[0:1], v14, off
	global_store_dword v[16:17], v23, off
	v_or_b32_e32 v20, v20, v19
	s_or_b32 s0, s1, s0
	v_cvt_f64_f32_e32 v[18:19], v6
	v_add_co_ci_u32_e64 v6, s0, 0, v24, s0
	v_cmp_ne_u32_e64 s0, 0, v4
	v_and_or_b32 v10, 0x1ff, v11, v10
	v_cndmask_b32_e64 v4, 0, 1, s0
	v_cmp_gt_i32_e64 s0, 1, v21
	v_bfe_u32 v26, v11, 20, 11
	v_lshl_or_b32 v4, v4, 9, 0x7c00
	v_cndmask_b32_e64 v20, v25, v20, s0
	v_cmp_gt_i32_e64 s0, 31, v22
	v_lshrrev_b32_e32 v25, 8, v11
	v_lshrrev_b32_e32 v11, 16, v11
	v_and_b32_e32 v24, 7, v20
	v_cndmask_b32_e64 v6, 0x7c00, v6, s0
	v_cmp_ne_u32_e64 s0, 0, v10
	v_cmp_eq_u32_e64 s1, 3, v24
	v_cndmask_b32_e64 v10, 0, 1, s0
	v_cmp_eq_u32_e64 s0, 0x40f, v22
	v_lshrrev_b32_e32 v22, 16, v5
	v_and_or_b32 v10, 0xffe, v25, v10
	v_cndmask_b32_e64 v6, v6, v4, s0
	v_cmp_lt_i32_e64 s0, 5, v24
	v_mul_f64 v[4:5], v[18:19], s[4:5]
	v_lshrrev_b32_e32 v18, 2, v20
	v_sub_nc_u32_e32 v25, 0x3f1, v26
	v_or_b32_e32 v19, 0x1000, v10
	s_or_b32 s0, s1, s0
	v_lshrrev_b32_e32 v24, 16, v7
	v_add_co_ci_u32_e64 v18, s0, 0, v18, s0
	v_med3_i32 v20, v25, 0, 13
	v_cmp_ne_u32_e64 s0, 0, v8
	v_mul_f16_sdwa v27, v79, v24 dst_sel:DWORD dst_unused:UNUSED_PAD src0_sel:WORD_1 src1_sel:DWORD
	v_and_or_b32 v6, 0x8000, v22, v6
	v_lshrrev_b32_e32 v25, v20, v19
	v_cndmask_b32_e64 v8, 0, 1, s0
	v_cmp_gt_i32_e64 s0, 31, v21
	v_fmac_f16_e32 v27, v79, v7
	v_and_b32_e32 v6, 0xffff, v6
	v_lshlrev_b32_e32 v20, v20, v25
	v_lshl_or_b32 v8, v8, 9, 0x7c00
	v_cndmask_b32_e64 v18, 0x7c00, v18, s0
	v_cmp_eq_u32_e64 s0, 0x40f, v21
	v_and_or_b32 v4, 0x1ff, v5, v4
	v_lshrrev_b32_e32 v21, 16, v9
	v_lshrrev_b32_e32 v22, 8, v5
	v_cndmask_b32_e64 v18, v18, v8, s0
	v_cmp_ne_u32_e64 s0, v20, v19
	v_cvt_f32_f16_e32 v8, v27
	v_add_nc_u32_e32 v20, 0xfffffc10, v26
	v_bfe_u32 v26, v5, 20, 11
	v_and_or_b32 v18, 0x8000, v21, v18
	v_cndmask_b32_e64 v19, 0, 1, s0
	v_cmp_ne_u32_e64 s0, 0, v4
	v_cvt_f64_f32_e32 v[8:9], v8
	v_lshl_or_b32 v21, v20, 12, v10
	v_lshl_or_b32 v14, v18, 16, v6
	v_or_b32_e32 v19, v25, v19
	v_cndmask_b32_e64 v4, 0, 1, s0
	v_cmp_gt_i32_e64 s0, 1, v20
	v_and_or_b32 v4, 0xffe, v22, v4
	v_sub_nc_u32_e32 v22, 0x3f1, v26
	v_cndmask_b32_e64 v19, v21, v19, s0
	v_add_co_u32 v0, s0, v16, s6
	v_or_b32_e32 v21, 0x1000, v4
	v_med3_i32 v22, v22, 0, 13
	v_and_b32_e32 v6, 7, v19
	v_add_co_ci_u32_e64 v1, s0, s7, v17, s0
	v_lshrrev_b32_e32 v18, v22, v21
	v_cmp_lt_i32_e64 s0, 5, v6
	v_mul_f64 v[8:9], v[8:9], s[4:5]
	v_cmp_eq_u32_e64 s1, 3, v6
	v_mul_f16_sdwa v6, v79, v7 dst_sel:DWORD dst_unused:UNUSED_PAD src0_sel:WORD_1 src1_sel:DWORD
	v_lshlrev_b32_e32 v16, v22, v18
	v_lshrrev_b32_e32 v7, 2, v19
	v_add_nc_u32_e32 v19, 0xfffffc10, v26
	s_or_b32 s0, s1, s0
	v_fma_f16 v6, v79, v24, -v6
	v_cmp_ne_u32_e64 s2, v16, v21
	v_add_co_ci_u32_e64 v21, s0, 0, v7, s0
	v_cmp_ne_u32_e64 s0, 0, v10
	v_lshl_or_b32 v22, v19, 12, v4
	v_cndmask_b32_e64 v16, 0, 1, s2
	global_store_dword v[0:1], v14, off
	v_cndmask_b32_e64 v10, 0, 1, s0
	v_cmp_gt_i32_e64 s0, 1, v19
	v_or_b32_e32 v18, v18, v16
	v_cvt_f32_f16_e32 v16, v6
	ds_read2_b32 v[6:7], v65 offset0:168 offset1:189
	v_lshl_or_b32 v10, v10, 9, 0x7c00
	v_and_or_b32 v8, 0x1ff, v9, v8
	v_cndmask_b32_e64 v18, v22, v18, s0
	v_cvt_f64_f32_e32 v[16:17], v16
	v_cmp_gt_i32_e64 s0, 31, v20
	v_lshrrev_b32_e32 v23, 8, v9
	v_bfe_u32 v24, v9, 20, 11
	v_and_b32_e32 v22, 7, v18
	v_lshrrev_b32_e32 v18, 2, v18
	v_cndmask_b32_e64 v21, 0x7c00, v21, s0
	v_cmp_ne_u32_e64 s0, 0, v8
	v_cmp_eq_u32_e64 s1, 3, v22
	v_cndmask_b32_e64 v8, 0, 1, s0
	v_cmp_eq_u32_e64 s0, 0x40f, v20
	v_sub_nc_u32_e32 v20, 0x3f1, v24
	v_and_or_b32 v8, 0xffe, v23, v8
	v_cndmask_b32_e64 v10, v21, v10, s0
	v_cmp_lt_i32_e64 s0, 5, v22
	v_med3_i32 v20, v20, 0, 13
	s_waitcnt lgkmcnt(0)
	v_lshrrev_b32_e32 v21, 16, v6
	v_mul_f64 v[16:17], v[16:17], s[4:5]
	v_or_b32_e32 v22, 0x1000, v8
	s_or_b32 s0, s1, s0
	v_and_or_b32 v10, 0x8000, v11, v10
	v_add_co_ci_u32_e64 v18, s0, 0, v18, s0
	v_cmp_ne_u32_e64 s0, 0, v4
	v_lshrrev_b32_e32 v25, v20, v22
	v_mul_f16_sdwa v23, v78, v21 dst_sel:DWORD dst_unused:UNUSED_PAD src0_sel:WORD_1 src1_sel:DWORD
	v_and_b32_e32 v10, 0xffff, v10
	v_cndmask_b32_e64 v4, 0, 1, s0
	v_cmp_gt_i32_e64 s0, 31, v19
	v_lshlrev_b32_e32 v20, v20, v25
	v_fmac_f16_e32 v23, v78, v6
	v_mul_f16_sdwa v6, v78, v6 dst_sel:DWORD dst_unused:UNUSED_PAD src0_sel:WORD_1 src1_sel:DWORD
	v_lshl_or_b32 v4, v4, 9, 0x7c00
	v_cndmask_b32_e64 v18, 0x7c00, v18, s0
	v_cmp_eq_u32_e64 s0, 0x40f, v19
	v_cvt_f32_f16_e32 v23, v23
	v_lshrrev_b32_e32 v19, 16, v5
	v_fma_f16 v6, v78, v21, -v6
	v_and_or_b32 v16, 0x1ff, v17, v16
	v_cndmask_b32_e64 v18, v18, v4, s0
	v_cmp_ne_u32_e64 s0, v20, v22
	v_add_nc_u32_e32 v22, 0xfffffc10, v24
	v_cvt_f64_f32_e32 v[4:5], v23
	v_bfe_u32 v23, v17, 20, 11
	v_and_or_b32 v11, 0x8000, v19, v18
	v_cndmask_b32_e64 v20, 0, 1, s0
	v_cmp_ne_u32_e64 s0, 0, v16
	v_lshl_or_b32 v19, v22, 12, v8
	v_cvt_f32_f16_e32 v6, v6
	v_lshl_or_b32 v10, v11, 16, v10
	v_or_b32_e32 v18, v25, v20
	v_cndmask_b32_e64 v16, 0, 1, s0
	v_lshrrev_b32_e32 v20, 8, v17
	v_cmp_gt_i32_e64 s0, 1, v22
	v_and_or_b32 v16, 0xffe, v20, v16
	v_cndmask_b32_e64 v18, v19, v18, s0
	v_sub_nc_u32_e32 v19, 0x3f1, v23
	v_add_co_u32 v0, s0, v0, s6
	v_or_b32_e32 v14, 0x1000, v16
	v_and_b32_e32 v11, 7, v18
	v_med3_i32 v19, v19, 0, 13
	v_add_co_ci_u32_e64 v1, s0, s7, v1, s0
	v_mul_f64 v[4:5], v[4:5], s[4:5]
	v_cmp_lt_i32_e64 s0, 5, v11
	v_lshrrev_b32_e32 v20, v19, v14
	v_cmp_eq_u32_e64 s1, 3, v11
	global_store_dword v[0:1], v10, off
	v_lshrrev_b32_e32 v10, 2, v18
	v_lshlrev_b32_e32 v11, v19, v20
	s_or_b32 s0, s1, s0
	v_add_co_ci_u32_e64 v18, s0, 0, v10, s0
	v_cmp_ne_u32_e64 s0, v11, v14
	v_add_nc_u32_e32 v14, 0xfffffc10, v23
	v_cndmask_b32_e64 v10, 0, 1, s0
	v_cmp_ne_u32_e64 s0, 0, v8
	v_or_b32_e32 v19, v20, v10
	v_cndmask_b32_e64 v8, 0, 1, s0
	v_cmp_gt_i32_e64 s0, 31, v22
	v_lshl_or_b32 v20, v14, 12, v16
	v_and_or_b32 v4, 0x1ff, v5, v4
	v_cvt_f64_f32_e32 v[10:11], v6
	v_lshl_or_b32 v8, v8, 9, 0x7c00
	v_cndmask_b32_e64 v6, 0x7c00, v18, s0
	v_cmp_gt_i32_e64 s0, 1, v14
	v_cndmask_b32_e64 v18, v20, v19, s0
	v_cmp_ne_u32_e64 s0, 0, v4
	v_lshrrev_b32_e32 v19, 8, v5
	v_bfe_u32 v20, v5, 20, 11
	v_lshrrev_b32_e32 v5, 16, v5
	v_cndmask_b32_e64 v4, 0, 1, s0
	v_cmp_eq_u32_e64 s0, 0x40f, v22
	v_sub_nc_u32_e32 v21, 0x3f1, v20
	v_lshrrev_b32_e32 v22, 16, v9
	v_add_nc_u32_e32 v20, 0xfffffc10, v20
	v_and_or_b32 v4, 0xffe, v19, v4
	v_cndmask_b32_e64 v6, v6, v8, s0
	v_and_b32_e32 v8, 7, v18
	v_lshrrev_b32_e32 v19, 16, v7
	v_lshrrev_b32_e32 v18, 2, v18
	v_or_b32_e32 v23, 0x1000, v4
	v_med3_i32 v21, v21, 0, 13
	v_cmp_lt_i32_e64 s0, 5, v8
	v_cmp_eq_u32_e64 s1, 3, v8
	v_mul_f16_sdwa v24, v77, v19 dst_sel:DWORD dst_unused:UNUSED_PAD src0_sel:WORD_1 src1_sel:DWORD
	v_mul_f64 v[8:9], v[10:11], s[4:5]
	v_lshrrev_b32_e32 v25, v21, v23
	v_and_or_b32 v6, 0x8000, v22, v6
	s_or_b32 s0, s1, s0
	v_fmac_f16_e32 v24, v77, v7
	v_add_co_ci_u32_e64 v10, s0, 0, v18, s0
	v_cmp_ne_u32_e64 s0, 0, v16
	v_lshlrev_b32_e32 v18, v21, v25
	v_cvt_f32_f16_e32 v11, v24
	v_and_b32_e32 v6, 0xffff, v6
	v_mul_f16_sdwa v7, v77, v7 dst_sel:DWORD dst_unused:UNUSED_PAD src0_sel:WORD_1 src1_sel:DWORD
	v_cndmask_b32_e64 v16, 0, 1, s0
	v_cmp_gt_i32_e64 s0, 31, v14
	v_fma_f16 v7, v77, v19, -v7
	v_lshl_or_b32 v16, v16, 9, 0x7c00
	v_cndmask_b32_e64 v21, 0x7c00, v10, s0
	v_cmp_ne_u32_e64 s0, v18, v23
	v_cvt_f64_f32_e32 v[10:11], v11
	v_cvt_f32_f16_e32 v7, v7
	v_and_or_b32 v8, 0x1ff, v9, v8
	v_cndmask_b32_e64 v18, 0, 1, s0
	v_cmp_eq_u32_e64 s0, 0x40f, v14
	v_cndmask_b32_e64 v14, v21, v16, s0
	v_lshrrev_b32_e32 v16, 16, v17
	v_or_b32_e32 v17, v25, v18
	v_lshl_or_b32 v18, v20, 12, v4
	v_cmp_gt_i32_e64 s0, 1, v20
	v_and_or_b32 v14, 0x8000, v16, v14
	v_cndmask_b32_e64 v16, v18, v17, s0
	v_cmp_ne_u32_e64 s0, 0, v8
	v_lshrrev_b32_e32 v17, 8, v9
	v_bfe_u32 v18, v9, 20, 11
	v_mul_f64 v[10:11], v[10:11], s[4:5]
	v_and_b32_e32 v21, 7, v16
	v_cndmask_b32_e64 v8, 0, 1, s0
	v_lshl_or_b32 v14, v14, 16, v6
	v_sub_nc_u32_e32 v6, 0x3f1, v18
	v_lshrrev_b32_e32 v16, 2, v16
	v_cmp_lt_i32_e64 s0, 5, v21
	v_and_or_b32 v8, 0xffe, v17, v8
	v_cmp_eq_u32_e64 s1, 3, v21
	v_med3_i32 v6, v6, 0, 13
	v_add_nc_u32_e32 v18, 0xfffffc10, v18
	v_lshrrev_b32_e32 v9, 16, v9
	v_or_b32_e32 v17, 0x1000, v8
	s_or_b32 s0, s1, s0
	v_add_co_ci_u32_e64 v16, s0, 0, v16, s0
	v_lshrrev_b32_e32 v21, v6, v17
	v_add_co_u32 v0, s0, v0, s6
	v_add_co_ci_u32_e64 v1, s0, s7, v1, s0
	v_lshlrev_b32_e32 v19, v6, v21
	v_cmp_gt_i32_e64 s0, 31, v20
	v_and_or_b32 v10, 0x1ff, v11, v10
	v_cvt_f64_f32_e32 v[6:7], v7
	v_lshrrev_b32_e32 v23, 8, v11
	v_bfe_u32 v24, v11, 20, 11
	v_cndmask_b32_e64 v22, 0x7c00, v16, s0
	v_cmp_ne_u32_e64 s0, v19, v17
	ds_read2_b32 v[16:17], v65 offset0:210 offset1:231
	global_store_dword v[0:1], v14, off
	v_lshrrev_b32_e32 v11, 16, v11
	v_cndmask_b32_e64 v19, 0, 1, s0
	v_cmp_ne_u32_e64 s0, 0, v10
	v_or_b32_e32 v19, v21, v19
	v_cndmask_b32_e64 v10, 0, 1, s0
	v_cmp_ne_u32_e64 s0, 0, v4
	v_lshl_or_b32 v21, v18, 12, v8
	v_and_or_b32 v10, 0xffe, v23, v10
	v_cndmask_b32_e64 v4, 0, 1, s0
	v_sub_nc_u32_e32 v23, 0x3f1, v24
	v_cmp_gt_i32_e64 s0, 1, v18
	v_mul_f64 v[6:7], v[6:7], s[4:5]
	s_waitcnt lgkmcnt(0)
	v_lshrrev_b32_e32 v14, 16, v16
	v_lshl_or_b32 v4, v4, 9, 0x7c00
	v_med3_i32 v23, v23, 0, 13
	v_cndmask_b32_e64 v19, v21, v19, s0
	v_or_b32_e32 v21, 0x1000, v10
	v_cmp_eq_u32_e64 s0, 0x40f, v20
	v_lshrrev_b32_e32 v20, v23, v21
	v_cndmask_b32_e64 v4, v22, v4, s0
	v_and_b32_e32 v22, 7, v19
	v_lshrrev_b32_e32 v19, 2, v19
	v_and_or_b32 v25, 0x8000, v5, v4
	v_lshlrev_b32_e32 v4, v23, v20
	v_cmp_lt_i32_e64 s0, 5, v22
	v_cmp_eq_u32_e64 s1, 3, v22
	v_mul_f16_sdwa v5, v76, v14 dst_sel:DWORD dst_unused:UNUSED_PAD src0_sel:WORD_1 src1_sel:DWORD
	v_cmp_ne_u32_e64 s2, v4, v21
	v_add_nc_u32_e32 v21, 0xfffffc10, v24
	s_or_b32 s0, s1, s0
	v_and_or_b32 v6, 0x1ff, v7, v6
	v_add_co_ci_u32_e64 v19, s0, 0, v19, s0
	v_cndmask_b32_e64 v4, 0, 1, s2
	v_cmp_ne_u32_e64 s0, 0, v8
	v_lshl_or_b32 v22, v21, 12, v10
	v_fmac_f16_e32 v5, v76, v16
	v_bfe_u32 v23, v7, 20, 11
	v_or_b32_e32 v20, v20, v4
	v_cndmask_b32_e64 v8, 0, 1, s0
	v_cmp_gt_i32_e64 s0, 1, v21
	v_cvt_f32_f16_e32 v4, v5
	v_mul_f16_sdwa v16, v76, v16 dst_sel:DWORD dst_unused:UNUSED_PAD src0_sel:WORD_1 src1_sel:DWORD
	v_lshl_or_b32 v8, v8, 9, 0x7c00
	v_cndmask_b32_e64 v20, v22, v20, s0
	v_cmp_ne_u32_e64 s0, 0, v6
	v_lshrrev_b32_e32 v22, 8, v7
	v_cvt_f64_f32_e32 v[4:5], v4
	v_lshrrev_b32_e32 v7, 16, v7
	v_and_b32_e32 v24, 7, v20
	v_cndmask_b32_e64 v6, 0, 1, s0
	v_cmp_gt_i32_e64 s0, 31, v18
	v_cmp_eq_u32_e64 s1, 3, v24
	v_and_or_b32 v6, 0xffe, v22, v6
	v_cndmask_b32_e64 v19, 0x7c00, v19, s0
	v_sub_nc_u32_e32 v22, 0x3f1, v23
	v_cmp_eq_u32_e64 s0, 0x40f, v18
	v_or_b32_e32 v18, 0x1000, v6
	v_cndmask_b32_e64 v8, v19, v8, s0
	v_med3_i32 v19, v22, 0, 13
	v_cmp_lt_i32_e64 s0, 5, v24
	v_and_or_b32 v24, 0x8000, v9, v8
	v_lshrrev_b32_e32 v22, v19, v18
	v_lshrrev_b32_e32 v8, 2, v20
	v_fma_f16 v9, v76, v14, -v16
	s_or_b32 s0, s1, s0
	v_mul_f64 v[4:5], v[4:5], s[4:5]
	v_lshlrev_b32_e32 v14, v19, v22
	v_add_co_ci_u32_e64 v16, s0, 0, v8, s0
	v_cvt_f32_f16_e32 v8, v9
	v_cmp_ne_u32_e64 s0, v14, v18
	v_add_nc_u32_e32 v18, 0xfffffc10, v23
	v_cvt_f64_f32_e32 v[8:9], v8
	v_cndmask_b32_e64 v14, 0, 1, s0
	v_cmp_ne_u32_e64 s0, 0, v10
	v_lshl_or_b32 v19, v18, 12, v6
	v_or_b32_e32 v14, v22, v14
	v_cndmask_b32_e64 v10, 0, 1, s0
	v_cmp_gt_i32_e64 s0, 31, v21
	v_lshrrev_b32_e32 v22, 16, v17
	v_lshl_or_b32 v10, v10, 9, 0x7c00
	v_cndmask_b32_e64 v16, 0x7c00, v16, s0
	v_cmp_gt_i32_e64 s0, 1, v18
	v_and_or_b32 v4, 0x1ff, v5, v4
	v_lshrrev_b32_e32 v20, 8, v5
	v_cndmask_b32_e64 v14, v19, v14, s0
	v_cmp_eq_u32_e64 s0, 0x40f, v21
	v_bfe_u32 v21, v5, 20, 11
	v_mul_f64 v[8:9], v[8:9], s[4:5]
	v_and_b32_e32 v19, 0xffff, v25
	v_cndmask_b32_e64 v10, v16, v10, s0
	v_and_b32_e32 v16, 7, v14
	v_cmp_ne_u32_e64 s0, 0, v4
	v_lshrrev_b32_e32 v14, 2, v14
	v_lshl_or_b32 v24, v24, 16, v19
	v_and_or_b32 v10, 0x8000, v11, v10
	v_cmp_eq_u32_e64 s1, 3, v16
	v_cndmask_b32_e64 v4, 0, 1, s0
	v_cmp_lt_i32_e64 s0, 5, v16
	v_sub_nc_u32_e32 v16, 0x3f1, v21
	v_and_b32_e32 v10, 0xffff, v10
	v_and_or_b32 v4, 0xffe, v20, v4
	s_or_b32 s0, s1, s0
	v_med3_i32 v16, v16, 0, 13
	v_add_co_ci_u32_e64 v14, s0, 0, v14, s0
	v_cmp_ne_u32_e64 s0, 0, v6
	v_or_b32_e32 v20, 0x1000, v4
	v_cndmask_b32_e64 v6, 0, 1, s0
	v_cmp_gt_i32_e64 s0, 31, v18
	v_lshrrev_b32_e32 v23, v16, v20
	v_lshl_or_b32 v6, v6, 9, 0x7c00
	v_cndmask_b32_e64 v14, 0x7c00, v14, s0
	v_cmp_eq_u32_e64 s0, 0x40f, v18
	v_lshlrev_b32_e32 v16, v16, v23
	v_bfe_u32 v18, v9, 20, 11
	v_cndmask_b32_e64 v6, v14, v6, s0
	v_mul_f16_sdwa v14, v75, v22 dst_sel:DWORD dst_unused:UNUSED_PAD src0_sel:WORD_1 src1_sel:DWORD
	v_cmp_ne_u32_e64 s0, v16, v20
	v_add_nc_u32_e32 v20, 0xfffffc10, v21
	v_lshrrev_b32_e32 v16, 8, v9
	v_and_or_b32 v11, 0x8000, v7, v6
	v_fmac_f16_e32 v14, v75, v17
	v_and_or_b32 v6, 0x1ff, v9, v8
	v_cndmask_b32_e64 v8, 0, 1, s0
	v_lshl_or_b32 v19, v20, 12, v4
	v_lshl_or_b32 v21, v11, 16, v10
	v_cvt_f32_f16_e32 v7, v14
	v_cmp_ne_u32_e64 s0, 0, v6
	v_or_b32_e32 v8, v23, v8
	v_mul_f16_sdwa v17, v75, v17 dst_sel:DWORD dst_unused:UNUSED_PAD src0_sel:WORD_1 src1_sel:DWORD
	v_cvt_f64_f32_e32 v[6:7], v7
	v_cndmask_b32_e64 v14, 0, 1, s0
	v_cmp_gt_i32_e64 s0, 1, v20
	v_fma_f16 v17, v75, v22, -v17
	v_add_nc_u32_e32 v22, 0xfffffc10, v18
	v_and_or_b32 v14, 0xffe, v16, v14
	v_sub_nc_u32_e32 v16, 0x3f1, v18
	v_cndmask_b32_e64 v8, v19, v8, s0
	v_add_co_u32 v0, s0, v0, s6
	v_or_b32_e32 v19, 0x1000, v14
	v_med3_i32 v16, v16, 0, 13
	v_add_co_ci_u32_e64 v1, s0, s7, v1, s0
	v_and_b32_e32 v23, 7, v8
	v_add_co_u32 v10, s0, v0, s6
	v_lshrrev_b32_e32 v25, v16, v19
	v_add_co_ci_u32_e64 v11, s0, s7, v1, s0
	v_cmp_lt_i32_e64 s0, 5, v23
	v_mul_f64 v[6:7], v[6:7], s[4:5]
	v_lshlrev_b32_e32 v16, v16, v25
	v_cmp_eq_u32_e64 s1, 3, v23
	v_lshrrev_b32_e32 v8, 2, v8
	v_cvt_f32_f16_e32 v17, v17
	v_add_nc_u32_e32 v18, 0x200, v65
	v_cmp_ne_u32_e64 s2, v16, v19
	s_or_b32 s0, s1, s0
	v_add_co_ci_u32_e64 v8, s0, 0, v8, s0
	v_cndmask_b32_e64 v16, 0, 1, s2
	v_cmp_ne_u32_e64 s0, 0, v4
	ds_read2_b32 v[18:19], v18 offset0:124 offset1:145
	global_store_dword v[0:1], v24, off
	global_store_dword v[10:11], v21, off
	v_or_b32_e32 v23, v25, v16
	v_cvt_f64_f32_e32 v[16:17], v17
	v_lshl_or_b32 v25, v22, 12, v14
	v_cndmask_b32_e64 v4, 0, 1, s0
	v_cmp_gt_i32_e64 s0, 1, v22
	v_and_or_b32 v6, 0x1ff, v7, v6
	v_lshrrev_b32_e32 v26, 8, v7
	v_lshl_or_b32 v4, v4, 9, 0x7c00
	v_cndmask_b32_e64 v23, v25, v23, s0
	v_cmp_gt_i32_e64 s0, 31, v20
	v_bfe_u32 v27, v7, 20, 11
	v_lshrrev_b32_e32 v7, 16, v7
	v_and_b32_e32 v25, 7, v23
	v_cndmask_b32_e64 v8, 0x7c00, v8, s0
	v_cmp_ne_u32_e64 s0, 0, v6
	v_cmp_eq_u32_e64 s1, 3, v25
	v_cndmask_b32_e64 v6, 0, 1, s0
	v_cmp_eq_u32_e64 s0, 0x40f, v20
	v_lshrrev_b32_e32 v20, 16, v5
	v_and_or_b32 v6, 0xffe, v26, v6
	v_cndmask_b32_e64 v8, v8, v4, s0
	v_cmp_lt_i32_e64 s0, 5, v25
	v_mul_f64 v[4:5], v[16:17], s[4:5]
	v_lshrrev_b32_e32 v17, 2, v23
	v_sub_nc_u32_e32 v26, 0x3f1, v27
	v_or_b32_e32 v23, 0x1000, v6
	s_or_b32 s0, s1, s0
	s_waitcnt lgkmcnt(0)
	v_lshrrev_b32_e32 v16, 16, v18
	v_add_co_ci_u32_e64 v17, s0, 0, v17, s0
	v_med3_i32 v25, v26, 0, 13
	v_cmp_ne_u32_e64 s0, 0, v14
	v_mul_f16_sdwa v26, v74, v16 dst_sel:DWORD dst_unused:UNUSED_PAD src0_sel:WORD_1 src1_sel:DWORD
	v_and_or_b32 v20, 0x8000, v20, v8
	v_lshrrev_b32_e32 v28, v25, v23
	v_cndmask_b32_e64 v14, 0, 1, s0
	v_cmp_gt_i32_e64 s0, 31, v22
	v_fmac_f16_e32 v26, v74, v18
	v_and_b32_e32 v20, 0xffff, v20
	v_lshlrev_b32_e32 v25, v25, v28
	v_lshl_or_b32 v14, v14, 9, 0x7c00
	v_cndmask_b32_e64 v17, 0x7c00, v17, s0
	v_cmp_eq_u32_e64 s0, 0x40f, v22
	v_and_or_b32 v4, 0x1ff, v5, v4
	v_cvt_f32_f16_e32 v8, v26
	v_bfe_u32 v26, v5, 20, 11
	v_cndmask_b32_e64 v14, v17, v14, s0
	v_cmp_ne_u32_e64 s0, v25, v23
	v_lshrrev_b32_e32 v17, 16, v9
	v_cvt_f64_f32_e32 v[8:9], v8
	v_add_nc_u32_e32 v23, 0xfffffc10, v27
	v_lshrrev_b32_e32 v25, 8, v5
	v_cndmask_b32_e64 v22, 0, 1, s0
	v_cmp_ne_u32_e64 s0, 0, v4
	v_and_or_b32 v14, 0x8000, v17, v14
	v_or_b32_e32 v17, v28, v22
	v_cndmask_b32_e64 v4, 0, 1, s0
	v_lshl_or_b32 v22, v23, 12, v6
	v_cmp_gt_i32_e64 s0, 1, v23
	v_lshl_or_b32 v14, v14, 16, v20
	v_and_or_b32 v4, 0xffe, v25, v4
	v_sub_nc_u32_e32 v25, 0x3f1, v26
	v_cndmask_b32_e64 v17, v22, v17, s0
	v_or_b32_e32 v22, 0x1000, v4
	v_med3_i32 v25, v25, 0, 13
	v_and_b32_e32 v20, 7, v17
	v_mul_f64 v[0:1], v[8:9], s[4:5]
	v_add_co_u32 v8, s0, v10, s6
	v_lshrrev_b32_e32 v21, v25, v22
	v_add_co_ci_u32_e64 v9, s0, s7, v11, s0
	v_cmp_lt_i32_e64 s0, 5, v20
	v_cmp_eq_u32_e64 s1, 3, v20
	v_lshlrev_b32_e32 v10, v25, v21
	v_mul_f16_sdwa v11, v74, v18 dst_sel:DWORD dst_unused:UNUSED_PAD src0_sel:WORD_1 src1_sel:DWORD
	v_lshrrev_b32_e32 v17, 2, v17
	global_store_dword v[8:9], v14, off
	s_or_b32 s0, s1, s0
	v_cmp_ne_u32_e64 s2, v10, v22
	v_fma_f16 v11, v74, v16, -v11
	v_add_co_ci_u32_e64 v17, s0, 0, v17, s0
	v_add_nc_u32_e32 v16, 0xfffffc10, v26
	v_cndmask_b32_e64 v10, 0, 1, s2
	v_cmp_ne_u32_e64 s0, 0, v6
	v_cvt_f32_f16_e32 v11, v11
	v_lshl_or_b32 v20, v16, 12, v4
	v_or_b32_e32 v18, v21, v10
	v_cndmask_b32_e64 v6, 0, 1, s0
	v_cmp_gt_i32_e64 s0, 1, v16
	v_cvt_f64_f32_e32 v[10:11], v11
	v_and_or_b32 v0, 0x1ff, v1, v0
	v_lshrrev_b32_e32 v21, 8, v1
	v_lshl_or_b32 v6, v6, 9, 0x7c00
	v_cndmask_b32_e64 v18, v20, v18, s0
	v_cmp_gt_i32_e64 s0, 31, v23
	v_bfe_u32 v22, v1, 20, 11
	v_and_b32_e32 v20, 7, v18
	v_cndmask_b32_e64 v17, 0x7c00, v17, s0
	v_cmp_ne_u32_e64 s0, 0, v0
	v_lshrrev_b32_e32 v18, 2, v18
	v_cmp_eq_u32_e64 s1, 3, v20
	v_cndmask_b32_e64 v0, 0, 1, s0
	v_cmp_eq_u32_e64 s0, 0x40f, v23
	v_and_or_b32 v0, 0xffe, v21, v0
	v_cndmask_b32_e64 v6, v17, v6, s0
	v_cmp_lt_i32_e64 s0, 5, v20
	v_lshrrev_b32_e32 v20, 16, v19
	v_mul_f64 v[10:11], v[10:11], s[4:5]
	v_sub_nc_u32_e32 v17, 0x3f1, v22
	v_or_b32_e32 v21, 0x1000, v0
	s_or_b32 s0, s1, s0
	v_mul_f16_sdwa v23, v73, v20 dst_sel:DWORD dst_unused:UNUSED_PAD src0_sel:WORD_1 src1_sel:DWORD
	v_add_co_ci_u32_e64 v18, s0, 0, v18, s0
	v_cmp_ne_u32_e64 s0, 0, v4
	v_med3_i32 v17, v17, 0, 13
	v_fmac_f16_e32 v23, v73, v19
	v_and_or_b32 v6, 0x8000, v7, v6
	v_cndmask_b32_e64 v4, 0, 1, s0
	v_cmp_gt_i32_e64 s0, 31, v16
	v_lshrrev_b32_e32 v24, v17, v21
	v_cvt_f32_f16_e32 v23, v23
	v_and_b32_e32 v6, 0xffff, v6
	v_lshl_or_b32 v4, v4, 9, 0x7c00
	v_cndmask_b32_e64 v18, 0x7c00, v18, s0
	v_cmp_eq_u32_e64 s0, 0x40f, v16
	v_lshlrev_b32_e32 v17, v17, v24
	v_and_or_b32 v10, 0x1ff, v11, v10
	v_cndmask_b32_e64 v16, v18, v4, s0
	v_lshrrev_b32_e32 v18, 16, v5
	v_cvt_f64_f32_e32 v[4:5], v23
	v_cmp_ne_u32_e64 s0, v17, v21
	v_add_nc_u32_e32 v21, 0xfffffc10, v22
	v_bfe_u32 v22, v11, 20, 11
	v_and_or_b32 v7, 0x8000, v18, v16
	v_lshrrev_b32_e32 v18, 8, v11
	v_cndmask_b32_e64 v17, 0, 1, s0
	v_cmp_ne_u32_e64 s0, 0, v10
	v_sub_nc_u32_e32 v14, 0x3f1, v22
	v_lshrrev_b32_e32 v11, 16, v11
	v_or_b32_e32 v16, v24, v17
	v_cndmask_b32_e64 v10, 0, 1, s0
	v_lshl_or_b32 v17, v21, 12, v0
	v_cmp_gt_i32_e64 s0, 1, v21
	v_med3_i32 v14, v14, 0, 13
	v_and_or_b32 v10, 0xffe, v18, v10
	v_cndmask_b32_e64 v16, v17, v16, s0
	v_lshl_or_b32 v17, v7, 16, v6
	v_add_co_u32 v6, s0, v8, s6
	v_mul_f64 v[4:5], v[4:5], s[4:5]
	v_or_b32_e32 v23, 0x1000, v10
	v_and_b32_e32 v18, 7, v16
	v_add_co_ci_u32_e64 v7, s0, s7, v9, s0
	v_lshrrev_b32_e32 v9, 2, v16
	v_lshrrev_b32_e32 v24, v14, v23
	v_cmp_lt_i32_e64 s0, 5, v18
	v_cmp_eq_u32_e64 s1, 3, v18
	global_store_dword v[6:7], v17, off
	v_mul_f16_sdwa v8, v73, v19 dst_sel:DWORD dst_unused:UNUSED_PAD src0_sel:WORD_1 src1_sel:DWORD
	v_lshlrev_b32_e32 v14, v14, v24
	v_add_nc_u32_e32 v18, 0xfffffc10, v22
	s_or_b32 s0, s1, s0
	v_add_co_ci_u32_e64 v17, s0, 0, v9, s0
	v_cmp_ne_u32_e64 s0, v14, v23
	v_fma_f16 v16, v73, v20, -v8
	ds_read2_b32 v[8:9], v15 offset0:38 offset1:59
	v_lshl_or_b32 v20, v18, 12, v10
	v_cndmask_b32_e64 v14, 0, 1, s0
	v_and_or_b32 v4, 0x1ff, v5, v4
	v_cmp_gt_i32_e64 s0, 31, v21
	v_cvt_f32_f16_e32 v16, v16
	v_lshrrev_b32_e32 v22, 8, v5
	v_or_b32_e32 v14, v24, v14
	v_bfe_u32 v23, v5, 20, 11
	v_cndmask_b32_e64 v19, 0x7c00, v17, s0
	v_cmp_ne_u32_e64 s0, 0, v4
	v_cvt_f64_f32_e32 v[16:17], v16
	v_cndmask_b32_e64 v4, 0, 1, s0
	v_cmp_ne_u32_e64 s0, 0, v0
	v_and_or_b32 v4, 0xffe, v22, v4
	v_cndmask_b32_e64 v0, 0, 1, s0
	v_cmp_gt_i32_e64 s0, 1, v18
	s_waitcnt lgkmcnt(0)
	v_lshrrev_b32_e32 v22, 16, v8
	v_or_b32_e32 v25, 0x1000, v4
	v_lshl_or_b32 v0, v0, 9, 0x7c00
	v_cndmask_b32_e64 v14, v20, v14, s0
	v_sub_nc_u32_e32 v20, 0x3f1, v23
	v_cmp_eq_u32_e64 s0, 0x40f, v21
	v_mul_f16_sdwa v26, v72, v22 dst_sel:DWORD dst_unused:UNUSED_PAD src0_sel:WORD_1 src1_sel:DWORD
	v_add_nc_u32_e32 v23, 0xfffffc10, v23
	v_and_b32_e32 v24, 7, v14
	v_med3_i32 v20, v20, 0, 13
	v_cndmask_b32_e64 v19, v19, v0, s0
	v_lshrrev_b32_e32 v0, 2, v14
	v_mul_f64 v[16:17], v[16:17], s[4:5]
	v_cmp_lt_i32_e64 s0, 5, v24
	v_cmp_eq_u32_e64 s1, 3, v24
	v_lshrrev_b32_e32 v21, v20, v25
	v_fmac_f16_e32 v26, v72, v8
	v_lshrrev_b32_e32 v24, 16, v1
	v_mul_f16_sdwa v8, v72, v8 dst_sel:DWORD dst_unused:UNUSED_PAD src0_sel:WORD_1 src1_sel:DWORD
	s_or_b32 s0, s1, s0
	v_lshlrev_b32_e32 v14, v20, v21
	v_add_co_ci_u32_e64 v20, s0, 0, v0, s0
	v_cmp_ne_u32_e64 s0, 0, v10
	v_cvt_f32_f16_e32 v1, v26
	v_and_or_b32 v19, 0x8000, v24, v19
	v_fma_f16 v8, v72, v22, -v8
	v_lshrrev_b32_e32 v26, 16, v9
	v_cndmask_b32_e64 v10, 0, 1, s0
	v_cmp_ne_u32_e64 s0, v14, v25
	v_cvt_f64_f32_e32 v[0:1], v1
	v_and_b32_e32 v19, 0xffff, v19
	v_cvt_f32_f16_e32 v8, v8
	v_lshl_or_b32 v10, v10, 9, 0x7c00
	v_cndmask_b32_e64 v14, 0, 1, s0
	v_cmp_gt_i32_e64 s0, 31, v18
	v_and_or_b32 v16, 0x1ff, v17, v16
	v_or_b32_e32 v14, v21, v14
	v_cndmask_b32_e64 v20, 0x7c00, v20, s0
	v_cmp_eq_u32_e64 s0, 0x40f, v18
	v_lshl_or_b32 v21, v23, 12, v4
	v_lshrrev_b32_e32 v18, 8, v17
	v_cndmask_b32_e64 v10, v20, v10, s0
	v_cmp_gt_i32_e64 s0, 1, v23
	v_bfe_u32 v20, v17, 20, 11
	v_lshrrev_b32_e32 v17, 16, v17
	v_and_or_b32 v10, 0x8000, v11, v10
	v_cndmask_b32_e64 v14, v21, v14, s0
	v_cmp_ne_u32_e64 s0, 0, v16
	v_mul_f64 v[0:1], v[0:1], s[4:5]
	v_lshl_or_b32 v19, v10, 16, v19
	v_and_b32_e32 v21, 7, v14
	v_cndmask_b32_e64 v16, 0, 1, s0
	v_lshrrev_b32_e32 v14, 2, v14
	v_cmp_lt_i32_e64 s0, 5, v21
	v_and_or_b32 v16, 0xffe, v18, v16
	v_sub_nc_u32_e32 v18, 0x3f1, v20
	v_cmp_eq_u32_e64 s1, 3, v21
	v_or_b32_e32 v11, 0x1000, v16
	v_med3_i32 v18, v18, 0, 13
	s_or_b32 s0, s1, s0
	v_add_co_ci_u32_e64 v14, s0, 0, v14, s0
	v_lshrrev_b32_e32 v21, v18, v11
	v_cmp_gt_i32_e64 s0, 31, v23
	v_and_or_b32 v0, 0x1ff, v1, v0
	v_bfe_u32 v22, v1, 20, 11
	v_lshlrev_b32_e32 v10, v18, v21
	v_cndmask_b32_e64 v14, 0x7c00, v14, s0
	v_cmp_ne_u32_e64 s0, v10, v11
	v_cvt_f64_f32_e32 v[10:11], v8
	v_add_nc_u32_e32 v8, 0xfffffc10, v20
	v_lshrrev_b32_e32 v20, 8, v1
	v_lshrrev_b32_e32 v1, 16, v1
	v_cndmask_b32_e64 v18, 0, 1, s0
	v_cmp_ne_u32_e64 s0, 0, v0
	v_or_b32_e32 v18, v21, v18
	v_cndmask_b32_e64 v0, 0, 1, s0
	v_cmp_ne_u32_e64 s0, 0, v4
	v_lshl_or_b32 v21, v8, 12, v16
	v_and_or_b32 v0, 0xffe, v20, v0
	v_cndmask_b32_e64 v4, 0, 1, s0
	v_cmp_gt_i32_e64 s0, 1, v8
	v_sub_nc_u32_e32 v20, 0x3f1, v22
	v_lshl_or_b32 v4, v4, 9, 0x7c00
	v_cndmask_b32_e64 v18, v21, v18, s0
	v_cmp_eq_u32_e64 s0, 0x40f, v23
	v_or_b32_e32 v21, 0x1000, v0
	v_med3_i32 v20, v20, 0, 13
	v_lshrrev_b32_e32 v23, 16, v5
	v_and_b32_e32 v24, 7, v18
	v_cndmask_b32_e64 v14, v14, v4, s0
	v_mul_f64 v[4:5], v[10:11], s[4:5]
	v_lshrrev_b32_e32 v25, v20, v21
	v_add_co_u32 v6, s0, v6, s6
	v_add_co_ci_u32_e64 v7, s0, s7, v7, s0
	v_lshlrev_b32_e32 v11, v20, v25
	v_mul_f16_sdwa v10, v71, v26 dst_sel:DWORD dst_unused:UNUSED_PAD src0_sel:WORD_1 src1_sel:DWORD
	v_cmp_lt_i32_e64 s0, 5, v24
	v_cmp_eq_u32_e64 s1, 3, v24
	v_lshrrev_b32_e32 v18, 2, v18
	v_cmp_ne_u32_e64 s2, v11, v21
	v_fmac_f16_e32 v10, v71, v9
	v_add_nc_u32_e32 v20, 0xfffffc10, v22
	s_or_b32 s0, s1, s0
	v_and_or_b32 v14, 0x8000, v23, v14
	v_add_co_ci_u32_e64 v18, s0, 0, v18, s0
	v_cndmask_b32_e64 v11, 0, 1, s2
	v_cmp_ne_u32_e64 s0, 0, v16
	v_cvt_f32_f16_e32 v10, v10
	v_lshl_or_b32 v22, v20, 12, v0
	v_and_or_b32 v4, 0x1ff, v5, v4
	v_or_b32_e32 v21, v25, v11
	v_cndmask_b32_e64 v16, 0, 1, s0
	v_cmp_gt_i32_e64 s0, 1, v20
	v_cvt_f64_f32_e32 v[10:11], v10
	v_bfe_u32 v23, v5, 20, 11
	v_and_b32_e32 v14, 0xffff, v14
	v_lshl_or_b32 v16, v16, 9, 0x7c00
	v_cndmask_b32_e64 v21, v22, v21, s0
	v_cmp_ne_u32_e64 s0, 0, v4
	v_lshrrev_b32_e32 v22, 8, v5
	v_mul_f16_sdwa v9, v71, v9 dst_sel:DWORD dst_unused:UNUSED_PAD src0_sel:WORD_1 src1_sel:DWORD
	v_and_b32_e32 v24, 7, v21
	v_cndmask_b32_e64 v4, 0, 1, s0
	v_cmp_gt_i32_e64 s0, 31, v8
	v_fma_f16 v9, v71, v26, -v9
	v_cmp_eq_u32_e64 s1, 3, v24
	v_and_or_b32 v4, 0xffe, v22, v4
	v_cndmask_b32_e64 v18, 0x7c00, v18, s0
	v_cmp_eq_u32_e64 s0, 0x40f, v8
	ds_read_b32 v22, v65 offset:1344
	v_cndmask_b32_e64 v8, v18, v16, s0
	v_sub_nc_u32_e32 v16, 0x3f1, v23
	v_cmp_lt_i32_e64 s0, 5, v24
	v_mul_f64 v[10:11], v[10:11], s[4:5]
	v_or_b32_e32 v18, 0x1000, v4
	v_and_or_b32 v8, 0x8000, v17, v8
	v_lshrrev_b32_e32 v17, 2, v21
	v_med3_i32 v16, v16, 0, 13
	s_or_b32 s0, s1, s0
	v_lshl_or_b32 v14, v8, 16, v14
	v_add_co_ci_u32_e64 v17, s0, 0, v17, s0
	v_lshrrev_b32_e32 v21, v16, v18
	v_cmp_ne_u32_e64 s0, 0, v0
	v_lshlrev_b32_e32 v8, v16, v21
	v_cndmask_b32_e64 v0, 0, 1, s0
	v_cmp_gt_i32_e64 s0, 31, v20
	v_lshl_or_b32 v0, v0, 9, 0x7c00
	v_cndmask_b32_e64 v16, 0x7c00, v17, s0
	v_cmp_ne_u32_e64 s0, v8, v18
	v_and_or_b32 v10, 0x1ff, v11, v10
	v_add_nc_u32_e32 v18, 0xfffffc10, v23
	v_cndmask_b32_e64 v8, 0, 1, s0
	v_cmp_eq_u32_e64 s0, 0x40f, v20
	v_lshl_or_b32 v17, v18, 12, v4
	v_lshrrev_b32_e32 v20, 8, v11
	v_cndmask_b32_e64 v0, v16, v0, s0
	v_cmp_ne_u32_e64 s0, 0, v10
	v_or_b32_e32 v16, v21, v8
	v_cvt_f32_f16_e32 v8, v9
	v_bfe_u32 v21, v11, 20, 11
	v_and_or_b32 v28, 0x8000, v1, v0
	v_cndmask_b32_e64 v10, 0, 1, s0
	v_cmp_gt_i32_e64 s0, 1, v18
	v_cvt_f64_f32_e32 v[8:9], v8
	v_lshrrev_b32_e32 v11, 16, v11
	v_and_or_b32 v10, 0xffe, v20, v10
	v_cndmask_b32_e64 v23, v17, v16, s0
	v_sub_nc_u32_e32 v16, 0x3f1, v21
	s_waitcnt lgkmcnt(0)
	v_lshrrev_b32_e32 v20, 16, v22
	v_add_nc_u32_e32 v21, 0xfffffc10, v21
	v_or_b32_e32 v25, 0x1000, v10
	v_and_b32_e32 v24, 7, v23
	v_med3_i32 v26, v16, 0, 13
	v_mul_f16_sdwa v27, v70, v20 dst_sel:DWORD dst_unused:UNUSED_PAD src0_sel:WORD_1 src1_sel:DWORD
	v_add_co_u32 v16, s0, v6, s6
	v_add_co_ci_u32_e64 v17, s0, s7, v7, s0
	v_lshrrev_b32_e32 v29, v26, v25
	v_fmac_f16_e32 v27, v70, v22
	v_cmp_lt_i32_e64 s0, 5, v24
	v_cmp_eq_u32_e64 s1, 3, v24
	v_lshrrev_b32_e32 v23, 2, v23
	v_lshlrev_b32_e32 v24, v26, v29
	v_cvt_f32_f16_e32 v26, v27
	v_mul_f64 v[0:1], v[8:9], s[4:5]
	s_or_b32 s0, s1, s0
	v_mul_f16_sdwa v22, v70, v22 dst_sel:DWORD dst_unused:UNUSED_PAD src0_sel:WORD_1 src1_sel:DWORD
	v_add_co_ci_u32_e64 v23, s0, 0, v23, s0
	v_cmp_ne_u32_e64 s0, v24, v25
	v_cvt_f64_f32_e32 v[8:9], v26
	v_lshl_or_b32 v25, v21, 12, v10
	v_fma_f16 v20, v70, v20, -v22
	v_cndmask_b32_e64 v24, 0, 1, s0
	v_cmp_ne_u32_e64 s0, 0, v4
	v_cvt_f32_f16_e32 v20, v20
	v_or_b32_e32 v24, v29, v24
	v_cndmask_b32_e64 v4, 0, 1, s0
	v_cmp_gt_i32_e64 s0, 31, v18
	v_lshl_or_b32 v4, v4, 9, 0x7c00
	v_cndmask_b32_e64 v22, 0x7c00, v23, s0
	v_cmp_gt_i32_e64 s0, 1, v21
	v_and_or_b32 v0, 0x1ff, v1, v0
	v_cndmask_b32_e64 v23, v25, v24, s0
	v_cmp_eq_u32_e64 s0, 0x40f, v18
	v_mul_f64 v[8:9], v[8:9], s[4:5]
	v_lshrrev_b32_e32 v24, 8, v1
	v_bfe_u32 v25, v1, 20, 11
	v_lshrrev_b32_e32 v1, 16, v1
	v_cndmask_b32_e64 v18, v22, v4, s0
	v_lshrrev_b32_e32 v22, 16, v5
	v_cvt_f64_f32_e32 v[4:5], v20
	v_cmp_ne_u32_e64 s0, 0, v0
	v_and_b32_e32 v20, 7, v23
	v_and_or_b32 v18, 0x8000, v22, v18
	v_and_b32_e32 v22, 0xffff, v28
	v_cndmask_b32_e64 v0, 0, 1, s0
	v_cmp_lt_i32_e64 s0, 5, v20
	v_cmp_eq_u32_e64 s1, 3, v20
	v_lshrrev_b32_e32 v20, 2, v23
	v_lshl_or_b32 v18, v18, 16, v22
	v_and_or_b32 v0, 0xffe, v24, v0
	v_sub_nc_u32_e32 v24, 0x3f1, v25
	s_or_b32 s0, s1, s0
	v_add_co_ci_u32_e64 v20, s0, 0, v20, s0
	v_or_b32_e32 v22, 0x1000, v0
	v_med3_i32 v23, v24, 0, 13
	v_cmp_ne_u32_e64 s0, 0, v10
	v_and_or_b32 v8, 0x1ff, v9, v8
	v_lshrrev_b32_e32 v26, 8, v9
	v_mul_f64 v[4:5], v[4:5], s[4:5]
	v_lshrrev_b32_e32 v24, v23, v22
	v_cndmask_b32_e64 v10, 0, 1, s0
	v_cmp_gt_i32_e64 s0, 31, v21
	v_bfe_u32 v27, v9, 20, 11
	v_lshrrev_b32_e32 v9, 16, v9
	v_lshlrev_b32_e32 v23, v23, v24
	v_lshl_or_b32 v10, v10, 9, 0x7c00
	v_cndmask_b32_e64 v20, 0x7c00, v20, s0
	v_cmp_ne_u32_e64 s0, 0, v8
	v_cndmask_b32_e64 v8, 0, 1, s0
	v_cmp_ne_u32_e64 s0, v23, v22
	v_add_nc_u32_e32 v23, 0xfffffc10, v25
	v_sub_nc_u32_e32 v25, 0x3f1, v27
	v_and_or_b32 v8, 0xffe, v26, v8
	v_cndmask_b32_e64 v22, 0, 1, s0
	v_cmp_eq_u32_e64 s0, 0x40f, v21
	v_lshl_or_b32 v21, v23, 12, v0
	v_and_or_b32 v4, 0x1ff, v5, v4
	v_bfe_u32 v26, v5, 20, 11
	v_cndmask_b32_e64 v10, v20, v10, s0
	v_or_b32_e32 v20, v24, v22
	v_or_b32_e32 v22, 0x1000, v8
	v_med3_i32 v24, v25, 0, 13
	v_cmp_gt_i32_e64 s0, 1, v23
	v_lshrrev_b32_e32 v25, 8, v5
	v_and_or_b32 v10, 0x8000, v11, v10
	v_sub_nc_u32_e32 v11, 0x3f1, v26
	v_cndmask_b32_e64 v20, v21, v20, s0
	v_lshrrev_b32_e32 v21, v24, v22
	v_cmp_ne_u32_e64 s0, 0, v4
	v_med3_i32 v11, v11, 0, 13
	v_and_b32_e32 v28, 7, v20
	v_lshlrev_b32_e32 v24, v24, v21
	v_cndmask_b32_e64 v4, 0, 1, s0
	v_lshrrev_b32_e32 v20, 2, v20
	v_cmp_lt_i32_e64 s0, 5, v28
	v_cmp_ne_u32_e64 s1, v24, v22
	v_and_or_b32 v4, 0xffe, v25, v4
	v_add_nc_u32_e32 v25, 0xfffffc10, v27
	v_cndmask_b32_e64 v22, 0, 1, s1
	v_cmp_eq_u32_e64 s1, 3, v28
	v_or_b32_e32 v24, 0x1000, v4
	v_lshl_or_b32 v27, v25, 12, v8
	v_or_b32_e32 v21, v21, v22
	s_or_b32 s0, s1, s0
	v_lshrrev_b32_e32 v22, v11, v24
	v_add_co_ci_u32_e64 v20, s0, 0, v20, s0
	v_cmp_gt_i32_e64 s0, 1, v25
	v_lshlrev_b32_e32 v11, v11, v22
	v_cndmask_b32_e64 v21, v27, v21, s0
	v_cmp_ne_u32_e64 s0, 0, v0
	v_cndmask_b32_e64 v0, 0, 1, s0
	v_cmp_ne_u32_e64 s0, v11, v24
	v_add_nc_u32_e32 v24, 0xfffffc10, v26
	v_and_b32_e32 v26, 7, v21
	v_lshl_or_b32 v0, v0, 9, 0x7c00
	v_cndmask_b32_e64 v11, 0, 1, s0
	v_cmp_gt_i32_e64 s0, 31, v23
	v_cmp_gt_i32_e64 s2, 1, v24
	v_cmp_eq_u32_e64 s1, 3, v26
	v_or_b32_e32 v11, v22, v11
	v_lshl_or_b32 v22, v24, 12, v4
	v_cndmask_b32_e64 v20, 0x7c00, v20, s0
	v_cmp_lt_i32_e64 s0, 5, v26
	v_cndmask_b32_e64 v11, v22, v11, s2
	v_cmp_eq_u32_e64 s2, 0x40f, v23
	s_or_b32 s0, s1, s0
	v_cndmask_b32_e64 v0, v20, v0, s2
	v_lshrrev_b32_e32 v20, 2, v21
	v_and_b32_e32 v21, 7, v11
	v_lshrrev_b32_e32 v11, 2, v11
	v_cmp_gt_i32_e64 s2, 31, v25
	v_and_or_b32 v0, 0x8000, v1, v0
	v_add_co_ci_u32_e64 v20, s0, 0, v20, s0
	v_cmp_ne_u32_e64 s0, 0, v8
	v_cmp_eq_u32_e64 s1, 3, v21
	v_and_b32_e32 v1, 0xffff, v10
	v_cndmask_b32_e64 v20, 0x7c00, v20, s2
	v_lshrrev_b32_e32 v10, 16, v5
	v_cndmask_b32_e64 v8, 0, 1, s0
	v_cmp_lt_i32_e64 s0, 5, v21
	v_lshl_or_b32 v8, v8, 9, 0x7c00
	s_or_b32 s0, s1, s0
	v_add_co_ci_u32_e64 v11, s0, 0, v11, s0
	v_cmp_ne_u32_e64 s0, 0, v4
	v_cndmask_b32_e64 v4, 0, 1, s0
	v_cmp_eq_u32_e64 s0, 0x40f, v25
	v_lshl_or_b32 v4, v4, 9, 0x7c00
	v_cndmask_b32_e64 v8, v20, v8, s0
	v_cmp_gt_i32_e64 s0, 31, v24
	v_and_or_b32 v8, 0x8000, v9, v8
	v_cndmask_b32_e64 v11, 0x7c00, v11, s0
	v_cmp_eq_u32_e64 s0, 0x40f, v24
	v_cndmask_b32_e64 v9, v11, v4, s0
	v_add_co_u32 v4, s0, v16, s6
	v_add_co_ci_u32_e64 v5, s0, s7, v17, s0
	v_lshl_or_b32 v11, v0, 16, v1
	v_and_or_b32 v0, 0x8000, v10, v9
	v_and_b32_e32 v1, 0xffff, v8
	v_add_co_u32 v8, s0, v4, s6
	v_add_co_ci_u32_e64 v9, s0, s7, v5, s0
	v_lshl_or_b32 v10, v0, 16, v1
	v_add_co_u32 v0, s0, v8, s6
	v_add_co_ci_u32_e64 v1, s0, s7, v9, s0
	global_store_dword v[6:7], v19, off
	global_store_dword v[16:17], v14, off
	;; [unrolled: 1-line block ×5, first 2 shown]
	s_and_b32 exec_lo, exec_lo, vcc_lo
	s_cbranch_execz .LBB0_15
; %bb.14:
	global_load_dword v6, v[12:13], off offset:68
	ds_read2_b32 v[4:5], v65 offset0:17 offset1:38
	v_mad_u64_u32 v[0:1], null, 0xfffffb04, s8, v[0:1]
	s_mul_hi_u32 s3, s8, 0xa8
	s_mul_i32 s10, s8, 0xa8
	s_waitcnt lgkmcnt(0)
	v_lshrrev_b32_e32 v7, 16, v4
	s_waitcnt vmcnt(0)
	v_mul_f16_sdwa v8, v7, v6 dst_sel:DWORD dst_unused:UNUSED_PAD src0_sel:DWORD src1_sel:WORD_1
	v_mul_f16_sdwa v9, v4, v6 dst_sel:DWORD dst_unused:UNUSED_PAD src0_sel:DWORD src1_sel:WORD_1
	v_fmac_f16_e32 v8, v4, v6
	v_fma_f16 v4, v6, v7, -v9
	v_cvt_f32_f16_e32 v6, v8
	v_cvt_f32_f16_e32 v4, v4
	v_cvt_f64_f32_e32 v[6:7], v6
	v_cvt_f64_f32_e32 v[8:9], v4
	v_mul_f64 v[6:7], v[6:7], s[4:5]
	v_mul_f64 v[8:9], v[8:9], s[4:5]
	v_and_or_b32 v4, 0x1ff, v7, v6
	v_and_or_b32 v8, 0x1ff, v9, v8
	v_lshrrev_b32_e32 v6, 8, v7
	v_bfe_u32 v10, v7, 20, 11
	v_lshrrev_b32_e32 v11, 8, v9
	v_cmp_ne_u32_e32 vcc_lo, 0, v4
	v_bfe_u32 v14, v9, 20, 11
	v_lshrrev_b32_e32 v7, 16, v7
	v_sub_nc_u32_e32 v16, 0x3f1, v10
	v_add_nc_u32_e32 v10, 0xfffffc10, v10
	v_cndmask_b32_e64 v4, 0, 1, vcc_lo
	v_cmp_ne_u32_e32 vcc_lo, 0, v8
	v_lshrrev_b32_e32 v9, 16, v9
	v_and_or_b32 v4, 0xffe, v6, v4
	v_cndmask_b32_e64 v8, 0, 1, vcc_lo
	v_sub_nc_u32_e32 v6, 0x3f1, v14
	v_add_nc_u32_e32 v14, 0xfffffc10, v14
	v_and_or_b32 v8, 0xffe, v11, v8
	v_med3_i32 v11, v16, 0, 13
	v_or_b32_e32 v16, 0x1000, v4
	v_med3_i32 v6, v6, 0, 13
	v_or_b32_e32 v17, 0x1000, v8
	v_lshrrev_b32_e32 v18, v11, v16
	v_lshrrev_b32_e32 v19, v6, v17
	v_lshlrev_b32_e32 v11, v11, v18
	v_lshlrev_b32_e32 v6, v6, v19
	v_cmp_ne_u32_e32 vcc_lo, v11, v16
	v_lshl_or_b32 v16, v10, 12, v4
	v_cndmask_b32_e64 v11, 0, 1, vcc_lo
	v_cmp_ne_u32_e32 vcc_lo, v6, v17
	v_lshl_or_b32 v17, v14, 12, v8
	v_or_b32_e32 v11, v18, v11
	v_cndmask_b32_e64 v6, 0, 1, vcc_lo
	v_cmp_gt_i32_e32 vcc_lo, 1, v10
	v_or_b32_e32 v6, v19, v6
	v_cndmask_b32_e32 v11, v16, v11, vcc_lo
	v_cmp_gt_i32_e32 vcc_lo, 1, v14
	v_and_b32_e32 v16, 7, v11
	v_cndmask_b32_e32 v6, v17, v6, vcc_lo
	v_cmp_ne_u32_e32 vcc_lo, 0, v4
	v_lshrrev_b32_e32 v11, 2, v11
	v_cmp_eq_u32_e64 s0, 3, v16
	v_and_b32_e32 v17, 7, v6
	v_cndmask_b32_e64 v4, 0, 1, vcc_lo
	v_cmp_ne_u32_e32 vcc_lo, 0, v8
	v_lshrrev_b32_e32 v6, 2, v6
	v_cmp_lt_i32_e64 s1, 5, v17
	v_cmp_eq_u32_e64 s2, 3, v17
	v_cndmask_b32_e64 v8, 0, 1, vcc_lo
	v_cmp_lt_i32_e32 vcc_lo, 5, v16
	v_lshl_or_b32 v4, v4, 9, 0x7c00
	v_lshl_or_b32 v8, v8, 9, 0x7c00
	s_or_b32 vcc_lo, s0, vcc_lo
	s_mul_i32 s0, s9, 0xfffffb04
	v_add_co_ci_u32_e32 v11, vcc_lo, 0, v11, vcc_lo
	s_or_b32 vcc_lo, s2, s1
	s_sub_i32 s0, s0, s8
	v_add_co_ci_u32_e32 v6, vcc_lo, 0, v6, vcc_lo
	v_cmp_gt_i32_e32 vcc_lo, 31, v10
	v_add_nc_u32_e32 v1, s0, v1
	v_cndmask_b32_e32 v11, 0x7c00, v11, vcc_lo
	v_cmp_gt_i32_e32 vcc_lo, 31, v14
	v_cndmask_b32_e32 v6, 0x7c00, v6, vcc_lo
	v_cmp_eq_u32_e32 vcc_lo, 0x40f, v10
	v_cndmask_b32_e32 v4, v11, v4, vcc_lo
	v_cmp_eq_u32_e32 vcc_lo, 0x40f, v14
	v_and_or_b32 v4, 0x8000, v7, v4
	v_cndmask_b32_e32 v6, v6, v8, vcc_lo
	v_and_b32_e32 v4, 0xffff, v4
	v_and_or_b32 v6, 0x8000, v9, v6
	v_lshl_or_b32 v4, v6, 16, v4
	v_lshrrev_b32_e32 v6, 16, v5
	global_store_dword v[0:1], v4, off
	global_load_dword v4, v[12:13], off offset:152
	s_waitcnt vmcnt(0)
	v_mul_f16_sdwa v7, v6, v4 dst_sel:DWORD dst_unused:UNUSED_PAD src0_sel:DWORD src1_sel:WORD_1
	v_mul_f16_sdwa v8, v5, v4 dst_sel:DWORD dst_unused:UNUSED_PAD src0_sel:DWORD src1_sel:WORD_1
	v_fmac_f16_e32 v7, v5, v4
	v_fma_f16 v4, v4, v6, -v8
	v_cvt_f32_f16_e32 v5, v7
	v_cvt_f32_f16_e32 v6, v4
	v_cvt_f64_f32_e32 v[4:5], v5
	v_cvt_f64_f32_e32 v[6:7], v6
	v_mul_f64 v[4:5], v[4:5], s[4:5]
	v_mul_f64 v[6:7], v[6:7], s[4:5]
	v_and_or_b32 v4, 0x1ff, v5, v4
	v_and_or_b32 v6, 0x1ff, v7, v6
	v_lshrrev_b32_e32 v8, 8, v5
	v_bfe_u32 v9, v5, 20, 11
	v_lshrrev_b32_e32 v10, 8, v7
	v_cmp_ne_u32_e32 vcc_lo, 0, v4
	v_bfe_u32 v11, v7, 20, 11
	v_lshrrev_b32_e32 v5, 16, v5
	v_sub_nc_u32_e32 v14, 0x3f1, v9
	v_add_nc_u32_e32 v9, 0xfffffc10, v9
	v_cndmask_b32_e64 v4, 0, 1, vcc_lo
	v_cmp_ne_u32_e32 vcc_lo, 0, v6
	v_lshrrev_b32_e32 v7, 16, v7
	v_and_or_b32 v4, 0xffe, v8, v4
	v_cndmask_b32_e64 v6, 0, 1, vcc_lo
	v_sub_nc_u32_e32 v8, 0x3f1, v11
	v_add_nc_u32_e32 v11, 0xfffffc10, v11
	v_and_or_b32 v6, 0xffe, v10, v6
	v_med3_i32 v10, v14, 0, 13
	v_or_b32_e32 v14, 0x1000, v4
	v_med3_i32 v8, v8, 0, 13
	v_or_b32_e32 v16, 0x1000, v6
	v_lshrrev_b32_e32 v17, v10, v14
	v_lshrrev_b32_e32 v18, v8, v16
	v_lshlrev_b32_e32 v10, v10, v17
	v_lshlrev_b32_e32 v8, v8, v18
	v_cmp_ne_u32_e32 vcc_lo, v10, v14
	v_lshl_or_b32 v14, v9, 12, v4
	v_cndmask_b32_e64 v10, 0, 1, vcc_lo
	v_cmp_ne_u32_e32 vcc_lo, v8, v16
	v_lshl_or_b32 v16, v11, 12, v6
	v_or_b32_e32 v10, v17, v10
	v_cndmask_b32_e64 v8, 0, 1, vcc_lo
	v_cmp_gt_i32_e32 vcc_lo, 1, v9
	v_or_b32_e32 v8, v18, v8
	v_cndmask_b32_e32 v10, v14, v10, vcc_lo
	v_cmp_gt_i32_e32 vcc_lo, 1, v11
	v_and_b32_e32 v14, 7, v10
	v_cndmask_b32_e32 v8, v16, v8, vcc_lo
	v_cmp_ne_u32_e32 vcc_lo, 0, v4
	v_lshrrev_b32_e32 v10, 2, v10
	v_cmp_eq_u32_e64 s0, 3, v14
	v_and_b32_e32 v16, 7, v8
	v_cndmask_b32_e64 v4, 0, 1, vcc_lo
	v_cmp_ne_u32_e32 vcc_lo, 0, v6
	v_lshrrev_b32_e32 v8, 2, v8
	v_cmp_lt_i32_e64 s1, 5, v16
	v_cmp_eq_u32_e64 s2, 3, v16
	v_cndmask_b32_e64 v6, 0, 1, vcc_lo
	v_cmp_lt_i32_e32 vcc_lo, 5, v14
	v_lshl_or_b32 v4, v4, 9, 0x7c00
	v_lshl_or_b32 v6, v6, 9, 0x7c00
	s_or_b32 vcc_lo, s0, vcc_lo
	v_add_co_ci_u32_e32 v10, vcc_lo, 0, v10, vcc_lo
	s_or_b32 vcc_lo, s2, s1
	v_add_co_ci_u32_e32 v8, vcc_lo, 0, v8, vcc_lo
	v_cmp_gt_i32_e32 vcc_lo, 31, v9
	v_cndmask_b32_e32 v10, 0x7c00, v10, vcc_lo
	v_cmp_gt_i32_e32 vcc_lo, 31, v11
	v_cndmask_b32_e32 v8, 0x7c00, v8, vcc_lo
	v_cmp_eq_u32_e32 vcc_lo, 0x40f, v9
	v_cndmask_b32_e32 v4, v10, v4, vcc_lo
	v_cmp_eq_u32_e32 vcc_lo, 0x40f, v11
	v_and_or_b32 v4, 0x8000, v5, v4
	v_cndmask_b32_e32 v6, v8, v6, vcc_lo
	v_add_co_u32 v0, vcc_lo, v0, s6
	v_add_co_ci_u32_e32 v1, vcc_lo, s7, v1, vcc_lo
	v_and_or_b32 v5, 0x8000, v7, v6
	v_and_b32_e32 v4, 0xffff, v4
	v_lshl_or_b32 v4, v5, 16, v4
	global_store_dword v[0:1], v4, off
	global_load_dword v6, v[12:13], off offset:236
	ds_read2_b32 v[4:5], v65 offset0:59 offset1:80
	s_waitcnt lgkmcnt(0)
	v_lshrrev_b32_e32 v7, 16, v4
	s_waitcnt vmcnt(0)
	v_mul_f16_sdwa v8, v7, v6 dst_sel:DWORD dst_unused:UNUSED_PAD src0_sel:DWORD src1_sel:WORD_1
	v_mul_f16_sdwa v9, v4, v6 dst_sel:DWORD dst_unused:UNUSED_PAD src0_sel:DWORD src1_sel:WORD_1
	v_fmac_f16_e32 v8, v4, v6
	v_fma_f16 v4, v6, v7, -v9
	v_cvt_f32_f16_e32 v6, v8
	v_cvt_f32_f16_e32 v4, v4
	v_cvt_f64_f32_e32 v[6:7], v6
	v_cvt_f64_f32_e32 v[8:9], v4
	v_mul_f64 v[6:7], v[6:7], s[4:5]
	v_mul_f64 v[8:9], v[8:9], s[4:5]
	v_and_or_b32 v4, 0x1ff, v7, v6
	v_and_or_b32 v8, 0x1ff, v9, v8
	v_lshrrev_b32_e32 v6, 8, v7
	v_bfe_u32 v10, v7, 20, 11
	v_lshrrev_b32_e32 v11, 8, v9
	v_cmp_ne_u32_e32 vcc_lo, 0, v4
	v_bfe_u32 v14, v9, 20, 11
	v_lshrrev_b32_e32 v7, 16, v7
	v_sub_nc_u32_e32 v16, 0x3f1, v10
	v_add_nc_u32_e32 v10, 0xfffffc10, v10
	v_cndmask_b32_e64 v4, 0, 1, vcc_lo
	v_cmp_ne_u32_e32 vcc_lo, 0, v8
	v_lshrrev_b32_e32 v9, 16, v9
	v_and_or_b32 v4, 0xffe, v6, v4
	v_cndmask_b32_e64 v8, 0, 1, vcc_lo
	v_sub_nc_u32_e32 v6, 0x3f1, v14
	v_add_nc_u32_e32 v14, 0xfffffc10, v14
	v_and_or_b32 v8, 0xffe, v11, v8
	v_med3_i32 v11, v16, 0, 13
	v_or_b32_e32 v16, 0x1000, v4
	v_med3_i32 v6, v6, 0, 13
	v_or_b32_e32 v17, 0x1000, v8
	v_lshrrev_b32_e32 v18, v11, v16
	v_lshrrev_b32_e32 v19, v6, v17
	v_lshlrev_b32_e32 v11, v11, v18
	v_lshlrev_b32_e32 v6, v6, v19
	v_cmp_ne_u32_e32 vcc_lo, v11, v16
	v_lshl_or_b32 v16, v10, 12, v4
	v_cndmask_b32_e64 v11, 0, 1, vcc_lo
	v_cmp_ne_u32_e32 vcc_lo, v6, v17
	v_lshl_or_b32 v17, v14, 12, v8
	v_or_b32_e32 v11, v18, v11
	v_cndmask_b32_e64 v6, 0, 1, vcc_lo
	v_cmp_gt_i32_e32 vcc_lo, 1, v10
	v_or_b32_e32 v6, v19, v6
	v_cndmask_b32_e32 v11, v16, v11, vcc_lo
	v_cmp_gt_i32_e32 vcc_lo, 1, v14
	v_and_b32_e32 v16, 7, v11
	v_cndmask_b32_e32 v6, v17, v6, vcc_lo
	v_cmp_ne_u32_e32 vcc_lo, 0, v4
	v_lshrrev_b32_e32 v11, 2, v11
	v_cmp_eq_u32_e64 s0, 3, v16
	v_and_b32_e32 v17, 7, v6
	v_cndmask_b32_e64 v4, 0, 1, vcc_lo
	v_cmp_ne_u32_e32 vcc_lo, 0, v8
	v_lshrrev_b32_e32 v6, 2, v6
	v_cmp_lt_i32_e64 s1, 5, v17
	v_cmp_eq_u32_e64 s2, 3, v17
	v_cndmask_b32_e64 v8, 0, 1, vcc_lo
	v_cmp_lt_i32_e32 vcc_lo, 5, v16
	v_lshl_or_b32 v4, v4, 9, 0x7c00
	v_lshl_or_b32 v8, v8, 9, 0x7c00
	s_or_b32 vcc_lo, s0, vcc_lo
	v_add_co_ci_u32_e32 v11, vcc_lo, 0, v11, vcc_lo
	s_or_b32 vcc_lo, s2, s1
	v_add_co_ci_u32_e32 v6, vcc_lo, 0, v6, vcc_lo
	v_cmp_gt_i32_e32 vcc_lo, 31, v10
	v_cndmask_b32_e32 v11, 0x7c00, v11, vcc_lo
	v_cmp_gt_i32_e32 vcc_lo, 31, v14
	v_cndmask_b32_e32 v6, 0x7c00, v6, vcc_lo
	v_cmp_eq_u32_e32 vcc_lo, 0x40f, v10
	v_cndmask_b32_e32 v4, v11, v4, vcc_lo
	v_cmp_eq_u32_e32 vcc_lo, 0x40f, v14
	v_and_or_b32 v4, 0x8000, v7, v4
	v_cndmask_b32_e32 v6, v6, v8, vcc_lo
	v_add_co_u32 v0, vcc_lo, v0, s6
	v_add_co_ci_u32_e32 v1, vcc_lo, s7, v1, vcc_lo
	v_and_or_b32 v6, 0x8000, v9, v6
	v_and_b32_e32 v4, 0xffff, v4
	v_lshl_or_b32 v4, v6, 16, v4
	v_lshrrev_b32_e32 v6, 16, v5
	global_store_dword v[0:1], v4, off
	global_load_dword v4, v[12:13], off offset:320
	s_waitcnt vmcnt(0)
	v_mul_f16_sdwa v7, v6, v4 dst_sel:DWORD dst_unused:UNUSED_PAD src0_sel:DWORD src1_sel:WORD_1
	v_mul_f16_sdwa v8, v5, v4 dst_sel:DWORD dst_unused:UNUSED_PAD src0_sel:DWORD src1_sel:WORD_1
	v_fmac_f16_e32 v7, v5, v4
	v_fma_f16 v4, v4, v6, -v8
	v_cvt_f32_f16_e32 v5, v7
	v_cvt_f32_f16_e32 v6, v4
	v_cvt_f64_f32_e32 v[4:5], v5
	v_cvt_f64_f32_e32 v[6:7], v6
	v_mul_f64 v[4:5], v[4:5], s[4:5]
	v_mul_f64 v[6:7], v[6:7], s[4:5]
	v_and_or_b32 v4, 0x1ff, v5, v4
	v_and_or_b32 v6, 0x1ff, v7, v6
	v_lshrrev_b32_e32 v8, 8, v5
	v_bfe_u32 v10, v5, 20, 11
	v_bfe_u32 v11, v7, 20, 11
	v_cmp_ne_u32_e32 vcc_lo, 0, v4
	v_lshrrev_b32_e32 v9, 8, v7
	v_lshrrev_b32_e32 v7, 16, v7
	v_sub_nc_u32_e32 v14, 0x3f1, v10
	v_sub_nc_u32_e32 v16, 0x3f1, v11
	v_cndmask_b32_e64 v4, 0, 1, vcc_lo
	v_cmp_ne_u32_e32 vcc_lo, 0, v6
	v_add_nc_u32_e32 v11, 0xfffffc10, v11
	v_and_or_b32 v17, 0xffe, v8, v4
	v_cndmask_b32_e64 v6, 0, 1, vcc_lo
	v_med3_i32 v4, v14, 0, 13
	v_med3_i32 v14, v16, 0, 13
	v_or_b32_e32 v16, 0x1000, v17
	v_and_or_b32 v6, 0xffe, v9, v6
	v_mad_u64_u32 v[8:9], null, s8, v69, 0
	v_lshrrev_b32_e32 v19, v4, v16
	v_or_b32_e32 v18, 0x1000, v6
	v_lshlrev_b32_e32 v21, v4, v19
	v_lshrrev_b32_e32 v20, v14, v18
	v_mov_b32_e32 v4, v9
	v_cmp_ne_u32_e32 vcc_lo, v21, v16
	v_lshlrev_b32_e32 v9, v14, v20
	v_add_nc_u32_e32 v14, 0xfffffc10, v10
	v_cndmask_b32_e64 v16, 0, 1, vcc_lo
	v_cmp_ne_u32_e32 vcc_lo, v9, v18
	v_mad_u64_u32 v[9:10], null, s9, v69, v[4:5]
	v_lshl_or_b32 v4, v14, 12, v17
	v_or_b32_e32 v10, v19, v16
	v_cndmask_b32_e64 v18, 0, 1, vcc_lo
	v_cmp_gt_i32_e32 vcc_lo, 1, v14
	v_lshl_or_b32 v16, v11, 12, v6
	v_lshrrev_b32_e32 v5, 16, v5
	v_or_b32_e32 v18, v20, v18
	v_cndmask_b32_e32 v4, v4, v10, vcc_lo
	v_cmp_gt_i32_e32 vcc_lo, 1, v11
	v_cndmask_b32_e32 v10, v16, v18, vcc_lo
	v_cmp_ne_u32_e32 vcc_lo, 0, v17
	v_and_b32_e32 v17, 7, v4
	v_lshrrev_b32_e32 v4, 2, v4
	v_and_b32_e32 v18, 7, v10
	v_cndmask_b32_e64 v16, 0, 1, vcc_lo
	v_cmp_ne_u32_e32 vcc_lo, 0, v6
	v_cmp_eq_u32_e64 s0, 3, v17
	v_lshrrev_b32_e32 v10, 2, v10
	v_cmp_lt_i32_e64 s1, 5, v18
	v_cmp_eq_u32_e64 s2, 3, v18
	v_cndmask_b32_e64 v6, 0, 1, vcc_lo
	v_cmp_lt_i32_e32 vcc_lo, 5, v17
	v_lshl_or_b32 v16, v16, 9, 0x7c00
	v_lshl_or_b32 v6, v6, 9, 0x7c00
	s_or_b32 vcc_lo, s0, vcc_lo
	v_add_co_ci_u32_e32 v4, vcc_lo, 0, v4, vcc_lo
	s_or_b32 vcc_lo, s2, s1
	v_add_co_ci_u32_e32 v10, vcc_lo, 0, v10, vcc_lo
	v_cmp_gt_i32_e32 vcc_lo, 31, v14
	v_cndmask_b32_e32 v4, 0x7c00, v4, vcc_lo
	v_cmp_gt_i32_e32 vcc_lo, 31, v11
	v_cndmask_b32_e32 v10, 0x7c00, v10, vcc_lo
	v_cmp_eq_u32_e32 vcc_lo, 0x40f, v14
	v_cndmask_b32_e32 v4, v4, v16, vcc_lo
	v_cmp_eq_u32_e32 vcc_lo, 0x40f, v11
	v_cndmask_b32_e32 v6, v10, v6, vcc_lo
	v_and_or_b32 v10, 0x8000, v5, v4
	v_lshlrev_b64 v[4:5], 2, v[8:9]
	v_and_or_b32 v6, 0x8000, v7, v6
	v_and_b32_e32 v7, 0xffff, v10
	v_add_co_u32 v4, vcc_lo, v2, v4
	v_add_co_ci_u32_e32 v5, vcc_lo, v3, v5, vcc_lo
	v_lshl_or_b32 v6, v6, 16, v7
	global_store_dword v[4:5], v6, off
	global_load_dword v6, v[12:13], off offset:404
	ds_read2_b32 v[4:5], v65 offset0:101 offset1:122
	s_waitcnt lgkmcnt(0)
	v_lshrrev_b32_e32 v7, 16, v4
	s_waitcnt vmcnt(0)
	v_mul_f16_sdwa v8, v7, v6 dst_sel:DWORD dst_unused:UNUSED_PAD src0_sel:DWORD src1_sel:WORD_1
	v_mul_f16_sdwa v9, v4, v6 dst_sel:DWORD dst_unused:UNUSED_PAD src0_sel:DWORD src1_sel:WORD_1
	v_fmac_f16_e32 v8, v4, v6
	v_fma_f16 v4, v6, v7, -v9
	v_cvt_f32_f16_e32 v6, v8
	v_cvt_f32_f16_e32 v4, v4
	v_cvt_f64_f32_e32 v[6:7], v6
	v_cvt_f64_f32_e32 v[8:9], v4
	v_mul_f64 v[6:7], v[6:7], s[4:5]
	v_mul_f64 v[8:9], v[8:9], s[4:5]
	v_and_or_b32 v4, 0x1ff, v7, v6
	v_and_or_b32 v8, 0x1ff, v9, v8
	v_lshrrev_b32_e32 v6, 8, v7
	v_bfe_u32 v10, v7, 20, 11
	v_lshrrev_b32_e32 v11, 8, v9
	v_cmp_ne_u32_e32 vcc_lo, 0, v4
	v_bfe_u32 v14, v9, 20, 11
	v_lshrrev_b32_e32 v7, 16, v7
	v_sub_nc_u32_e32 v16, 0x3f1, v10
	v_add_nc_u32_e32 v10, 0xfffffc10, v10
	v_cndmask_b32_e64 v4, 0, 1, vcc_lo
	v_cmp_ne_u32_e32 vcc_lo, 0, v8
	v_lshrrev_b32_e32 v9, 16, v9
	v_and_or_b32 v4, 0xffe, v6, v4
	v_cndmask_b32_e64 v8, 0, 1, vcc_lo
	v_sub_nc_u32_e32 v6, 0x3f1, v14
	v_add_nc_u32_e32 v14, 0xfffffc10, v14
	v_and_or_b32 v8, 0xffe, v11, v8
	v_med3_i32 v11, v16, 0, 13
	v_or_b32_e32 v16, 0x1000, v4
	v_med3_i32 v6, v6, 0, 13
	v_or_b32_e32 v17, 0x1000, v8
	v_lshrrev_b32_e32 v18, v11, v16
	v_lshrrev_b32_e32 v19, v6, v17
	v_lshlrev_b32_e32 v11, v11, v18
	v_lshlrev_b32_e32 v6, v6, v19
	v_cmp_ne_u32_e32 vcc_lo, v11, v16
	v_lshl_or_b32 v16, v10, 12, v4
	v_cndmask_b32_e64 v11, 0, 1, vcc_lo
	v_cmp_ne_u32_e32 vcc_lo, v6, v17
	v_lshl_or_b32 v17, v14, 12, v8
	v_or_b32_e32 v11, v18, v11
	v_cndmask_b32_e64 v6, 0, 1, vcc_lo
	v_cmp_gt_i32_e32 vcc_lo, 1, v10
	v_or_b32_e32 v6, v19, v6
	v_cndmask_b32_e32 v11, v16, v11, vcc_lo
	v_cmp_gt_i32_e32 vcc_lo, 1, v14
	v_and_b32_e32 v16, 7, v11
	v_cndmask_b32_e32 v6, v17, v6, vcc_lo
	v_cmp_ne_u32_e32 vcc_lo, 0, v4
	v_lshrrev_b32_e32 v11, 2, v11
	v_cmp_eq_u32_e64 s0, 3, v16
	v_and_b32_e32 v17, 7, v6
	v_cndmask_b32_e64 v4, 0, 1, vcc_lo
	v_cmp_ne_u32_e32 vcc_lo, 0, v8
	v_lshrrev_b32_e32 v6, 2, v6
	v_cmp_lt_i32_e64 s1, 5, v17
	v_cmp_eq_u32_e64 s2, 3, v17
	v_cndmask_b32_e64 v8, 0, 1, vcc_lo
	v_cmp_lt_i32_e32 vcc_lo, 5, v16
	v_lshl_or_b32 v4, v4, 9, 0x7c00
	v_lshl_or_b32 v8, v8, 9, 0x7c00
	s_or_b32 vcc_lo, s0, vcc_lo
	s_mul_i32 s0, s9, 0xa8
	v_add_co_ci_u32_e32 v11, vcc_lo, 0, v11, vcc_lo
	s_or_b32 vcc_lo, s2, s1
	s_add_i32 s3, s3, s0
	v_add_co_ci_u32_e32 v6, vcc_lo, 0, v6, vcc_lo
	v_cmp_gt_i32_e32 vcc_lo, 31, v10
	v_cndmask_b32_e32 v11, 0x7c00, v11, vcc_lo
	v_cmp_gt_i32_e32 vcc_lo, 31, v14
	v_cndmask_b32_e32 v6, 0x7c00, v6, vcc_lo
	v_cmp_eq_u32_e32 vcc_lo, 0x40f, v10
	v_cndmask_b32_e32 v4, v11, v4, vcc_lo
	v_cmp_eq_u32_e32 vcc_lo, 0x40f, v14
	v_and_or_b32 v4, 0x8000, v7, v4
	v_cndmask_b32_e32 v6, v6, v8, vcc_lo
	v_add_co_u32 v0, vcc_lo, v0, s10
	v_add_co_ci_u32_e32 v1, vcc_lo, s3, v1, vcc_lo
	v_and_or_b32 v6, 0x8000, v9, v6
	v_and_b32_e32 v4, 0xffff, v4
	v_lshl_or_b32 v4, v6, 16, v4
	v_lshrrev_b32_e32 v6, 16, v5
	global_store_dword v[0:1], v4, off
	global_load_dword v4, v[12:13], off offset:488
	s_waitcnt vmcnt(0)
	v_mul_f16_sdwa v7, v6, v4 dst_sel:DWORD dst_unused:UNUSED_PAD src0_sel:DWORD src1_sel:WORD_1
	v_mul_f16_sdwa v8, v5, v4 dst_sel:DWORD dst_unused:UNUSED_PAD src0_sel:DWORD src1_sel:WORD_1
	v_fmac_f16_e32 v7, v5, v4
	v_fma_f16 v4, v4, v6, -v8
	v_cvt_f32_f16_e32 v5, v7
	v_cvt_f32_f16_e32 v6, v4
	v_cvt_f64_f32_e32 v[4:5], v5
	v_cvt_f64_f32_e32 v[6:7], v6
	v_mul_f64 v[4:5], v[4:5], s[4:5]
	v_mul_f64 v[6:7], v[6:7], s[4:5]
	v_and_or_b32 v4, 0x1ff, v5, v4
	v_and_or_b32 v6, 0x1ff, v7, v6
	v_lshrrev_b32_e32 v8, 8, v5
	v_bfe_u32 v9, v5, 20, 11
	v_lshrrev_b32_e32 v10, 8, v7
	v_cmp_ne_u32_e32 vcc_lo, 0, v4
	v_bfe_u32 v11, v7, 20, 11
	v_lshrrev_b32_e32 v5, 16, v5
	v_sub_nc_u32_e32 v14, 0x3f1, v9
	v_add_nc_u32_e32 v9, 0xfffffc10, v9
	v_cndmask_b32_e64 v4, 0, 1, vcc_lo
	v_cmp_ne_u32_e32 vcc_lo, 0, v6
	v_lshrrev_b32_e32 v7, 16, v7
	v_and_or_b32 v4, 0xffe, v8, v4
	v_cndmask_b32_e64 v6, 0, 1, vcc_lo
	v_sub_nc_u32_e32 v8, 0x3f1, v11
	v_add_nc_u32_e32 v11, 0xfffffc10, v11
	v_and_or_b32 v6, 0xffe, v10, v6
	v_med3_i32 v10, v14, 0, 13
	v_or_b32_e32 v14, 0x1000, v4
	v_med3_i32 v8, v8, 0, 13
	v_or_b32_e32 v16, 0x1000, v6
	v_lshrrev_b32_e32 v17, v10, v14
	v_lshrrev_b32_e32 v18, v8, v16
	v_lshlrev_b32_e32 v10, v10, v17
	v_lshlrev_b32_e32 v8, v8, v18
	v_cmp_ne_u32_e32 vcc_lo, v10, v14
	v_lshl_or_b32 v14, v9, 12, v4
	v_cndmask_b32_e64 v10, 0, 1, vcc_lo
	v_cmp_ne_u32_e32 vcc_lo, v8, v16
	v_lshl_or_b32 v16, v11, 12, v6
	v_or_b32_e32 v10, v17, v10
	v_cndmask_b32_e64 v8, 0, 1, vcc_lo
	v_cmp_gt_i32_e32 vcc_lo, 1, v9
	v_or_b32_e32 v8, v18, v8
	v_cndmask_b32_e32 v10, v14, v10, vcc_lo
	v_cmp_gt_i32_e32 vcc_lo, 1, v11
	v_and_b32_e32 v14, 7, v10
	v_cndmask_b32_e32 v8, v16, v8, vcc_lo
	v_cmp_ne_u32_e32 vcc_lo, 0, v4
	v_lshrrev_b32_e32 v10, 2, v10
	v_cmp_eq_u32_e64 s0, 3, v14
	v_and_b32_e32 v16, 7, v8
	v_cndmask_b32_e64 v4, 0, 1, vcc_lo
	v_cmp_ne_u32_e32 vcc_lo, 0, v6
	v_lshrrev_b32_e32 v8, 2, v8
	v_cmp_lt_i32_e64 s1, 5, v16
	v_cmp_eq_u32_e64 s2, 3, v16
	v_cndmask_b32_e64 v6, 0, 1, vcc_lo
	v_cmp_lt_i32_e32 vcc_lo, 5, v14
	v_lshl_or_b32 v4, v4, 9, 0x7c00
	v_lshl_or_b32 v6, v6, 9, 0x7c00
	s_or_b32 vcc_lo, s0, vcc_lo
	v_add_co_ci_u32_e32 v10, vcc_lo, 0, v10, vcc_lo
	s_or_b32 vcc_lo, s2, s1
	v_add_co_ci_u32_e32 v8, vcc_lo, 0, v8, vcc_lo
	v_cmp_gt_i32_e32 vcc_lo, 31, v9
	v_cndmask_b32_e32 v10, 0x7c00, v10, vcc_lo
	v_cmp_gt_i32_e32 vcc_lo, 31, v11
	v_cndmask_b32_e32 v8, 0x7c00, v8, vcc_lo
	v_cmp_eq_u32_e32 vcc_lo, 0x40f, v9
	v_cndmask_b32_e32 v4, v10, v4, vcc_lo
	v_cmp_eq_u32_e32 vcc_lo, 0x40f, v11
	v_and_or_b32 v4, 0x8000, v5, v4
	v_cndmask_b32_e32 v6, v8, v6, vcc_lo
	v_add_co_u32 v0, vcc_lo, v0, s6
	v_add_co_ci_u32_e32 v1, vcc_lo, s7, v1, vcc_lo
	v_and_or_b32 v5, 0x8000, v7, v6
	v_and_b32_e32 v4, 0xffff, v4
	v_lshl_or_b32 v4, v5, 16, v4
	global_store_dword v[0:1], v4, off
	global_load_dword v6, v[12:13], off offset:572
	ds_read2_b32 v[4:5], v65 offset0:143 offset1:164
	s_waitcnt lgkmcnt(0)
	v_lshrrev_b32_e32 v7, 16, v4
	s_waitcnt vmcnt(0)
	v_mul_f16_sdwa v8, v7, v6 dst_sel:DWORD dst_unused:UNUSED_PAD src0_sel:DWORD src1_sel:WORD_1
	v_mul_f16_sdwa v9, v4, v6 dst_sel:DWORD dst_unused:UNUSED_PAD src0_sel:DWORD src1_sel:WORD_1
	v_fmac_f16_e32 v8, v4, v6
	v_fma_f16 v4, v6, v7, -v9
	v_cvt_f32_f16_e32 v6, v8
	v_cvt_f32_f16_e32 v4, v4
	v_cvt_f64_f32_e32 v[6:7], v6
	v_cvt_f64_f32_e32 v[8:9], v4
	v_mul_f64 v[6:7], v[6:7], s[4:5]
	v_mul_f64 v[8:9], v[8:9], s[4:5]
	v_and_or_b32 v4, 0x1ff, v7, v6
	v_and_or_b32 v8, 0x1ff, v9, v8
	v_lshrrev_b32_e32 v6, 8, v7
	v_bfe_u32 v10, v7, 20, 11
	v_lshrrev_b32_e32 v11, 8, v9
	v_cmp_ne_u32_e32 vcc_lo, 0, v4
	v_bfe_u32 v14, v9, 20, 11
	v_lshrrev_b32_e32 v7, 16, v7
	v_sub_nc_u32_e32 v16, 0x3f1, v10
	v_add_nc_u32_e32 v10, 0xfffffc10, v10
	v_cndmask_b32_e64 v4, 0, 1, vcc_lo
	v_cmp_ne_u32_e32 vcc_lo, 0, v8
	v_lshrrev_b32_e32 v9, 16, v9
	v_and_or_b32 v4, 0xffe, v6, v4
	v_cndmask_b32_e64 v8, 0, 1, vcc_lo
	v_sub_nc_u32_e32 v6, 0x3f1, v14
	v_add_nc_u32_e32 v14, 0xfffffc10, v14
	v_and_or_b32 v8, 0xffe, v11, v8
	v_med3_i32 v11, v16, 0, 13
	v_or_b32_e32 v16, 0x1000, v4
	v_med3_i32 v6, v6, 0, 13
	v_or_b32_e32 v17, 0x1000, v8
	v_lshrrev_b32_e32 v18, v11, v16
	v_lshrrev_b32_e32 v19, v6, v17
	v_lshlrev_b32_e32 v11, v11, v18
	v_lshlrev_b32_e32 v6, v6, v19
	v_cmp_ne_u32_e32 vcc_lo, v11, v16
	v_lshl_or_b32 v16, v10, 12, v4
	v_cndmask_b32_e64 v11, 0, 1, vcc_lo
	v_cmp_ne_u32_e32 vcc_lo, v6, v17
	v_lshl_or_b32 v17, v14, 12, v8
	v_or_b32_e32 v11, v18, v11
	v_cndmask_b32_e64 v6, 0, 1, vcc_lo
	v_cmp_gt_i32_e32 vcc_lo, 1, v10
	v_or_b32_e32 v6, v19, v6
	v_cndmask_b32_e32 v11, v16, v11, vcc_lo
	v_cmp_gt_i32_e32 vcc_lo, 1, v14
	v_and_b32_e32 v16, 7, v11
	v_cndmask_b32_e32 v6, v17, v6, vcc_lo
	v_cmp_ne_u32_e32 vcc_lo, 0, v4
	v_lshrrev_b32_e32 v11, 2, v11
	v_cmp_eq_u32_e64 s0, 3, v16
	v_and_b32_e32 v17, 7, v6
	v_cndmask_b32_e64 v4, 0, 1, vcc_lo
	v_cmp_ne_u32_e32 vcc_lo, 0, v8
	v_lshrrev_b32_e32 v6, 2, v6
	v_cmp_lt_i32_e64 s1, 5, v17
	v_cmp_eq_u32_e64 s2, 3, v17
	v_cndmask_b32_e64 v8, 0, 1, vcc_lo
	v_cmp_lt_i32_e32 vcc_lo, 5, v16
	v_lshl_or_b32 v4, v4, 9, 0x7c00
	v_lshl_or_b32 v8, v8, 9, 0x7c00
	s_or_b32 vcc_lo, s0, vcc_lo
	v_add_co_ci_u32_e32 v11, vcc_lo, 0, v11, vcc_lo
	s_or_b32 vcc_lo, s2, s1
	v_add_co_ci_u32_e32 v6, vcc_lo, 0, v6, vcc_lo
	v_cmp_gt_i32_e32 vcc_lo, 31, v10
	v_cndmask_b32_e32 v11, 0x7c00, v11, vcc_lo
	v_cmp_gt_i32_e32 vcc_lo, 31, v14
	v_cndmask_b32_e32 v6, 0x7c00, v6, vcc_lo
	v_cmp_eq_u32_e32 vcc_lo, 0x40f, v10
	v_cndmask_b32_e32 v4, v11, v4, vcc_lo
	v_cmp_eq_u32_e32 vcc_lo, 0x40f, v14
	v_and_or_b32 v4, 0x8000, v7, v4
	v_cndmask_b32_e32 v6, v6, v8, vcc_lo
	v_add_co_u32 v0, vcc_lo, v0, s6
	v_add_co_ci_u32_e32 v1, vcc_lo, s7, v1, vcc_lo
	v_and_or_b32 v6, 0x8000, v9, v6
	v_and_b32_e32 v4, 0xffff, v4
	v_lshl_or_b32 v4, v6, 16, v4
	v_lshrrev_b32_e32 v6, 16, v5
	global_store_dword v[0:1], v4, off
	global_load_dword v4, v[12:13], off offset:656
	s_waitcnt vmcnt(0)
	v_mul_f16_sdwa v7, v6, v4 dst_sel:DWORD dst_unused:UNUSED_PAD src0_sel:DWORD src1_sel:WORD_1
	v_mul_f16_sdwa v8, v5, v4 dst_sel:DWORD dst_unused:UNUSED_PAD src0_sel:DWORD src1_sel:WORD_1
	v_fmac_f16_e32 v7, v5, v4
	v_fma_f16 v4, v4, v6, -v8
	v_cvt_f32_f16_e32 v5, v7
	v_cvt_f32_f16_e32 v6, v4
	v_cvt_f64_f32_e32 v[4:5], v5
	v_cvt_f64_f32_e32 v[6:7], v6
	v_mul_f64 v[4:5], v[4:5], s[4:5]
	v_mul_f64 v[6:7], v[6:7], s[4:5]
	v_and_or_b32 v4, 0x1ff, v5, v4
	v_and_or_b32 v6, 0x1ff, v7, v6
	v_lshrrev_b32_e32 v8, 8, v5
	v_bfe_u32 v10, v5, 20, 11
	v_bfe_u32 v11, v7, 20, 11
	v_cmp_ne_u32_e32 vcc_lo, 0, v4
	v_lshrrev_b32_e32 v9, 8, v7
	v_lshrrev_b32_e32 v7, 16, v7
	v_sub_nc_u32_e32 v14, 0x3f1, v10
	v_sub_nc_u32_e32 v16, 0x3f1, v11
	v_cndmask_b32_e64 v4, 0, 1, vcc_lo
	v_cmp_ne_u32_e32 vcc_lo, 0, v6
	v_add_nc_u32_e32 v11, 0xfffffc10, v11
	v_and_or_b32 v17, 0xffe, v8, v4
	v_cndmask_b32_e64 v6, 0, 1, vcc_lo
	v_med3_i32 v4, v14, 0, 13
	v_med3_i32 v14, v16, 0, 13
	v_or_b32_e32 v16, 0x1000, v17
	v_and_or_b32 v6, 0xffe, v9, v6
	v_mad_u64_u32 v[8:9], null, s8, v68, 0
	v_lshrrev_b32_e32 v19, v4, v16
	v_or_b32_e32 v18, 0x1000, v6
	v_lshlrev_b32_e32 v21, v4, v19
	v_lshrrev_b32_e32 v20, v14, v18
	v_mov_b32_e32 v4, v9
	v_cmp_ne_u32_e32 vcc_lo, v21, v16
	v_lshlrev_b32_e32 v9, v14, v20
	v_add_nc_u32_e32 v14, 0xfffffc10, v10
	v_cndmask_b32_e64 v16, 0, 1, vcc_lo
	v_cmp_ne_u32_e32 vcc_lo, v9, v18
	v_mad_u64_u32 v[9:10], null, s9, v68, v[4:5]
	v_lshl_or_b32 v4, v14, 12, v17
	v_or_b32_e32 v10, v19, v16
	v_cndmask_b32_e64 v18, 0, 1, vcc_lo
	v_cmp_gt_i32_e32 vcc_lo, 1, v14
	v_lshl_or_b32 v16, v11, 12, v6
	v_lshrrev_b32_e32 v5, 16, v5
	v_or_b32_e32 v18, v20, v18
	v_cndmask_b32_e32 v4, v4, v10, vcc_lo
	v_cmp_gt_i32_e32 vcc_lo, 1, v11
	v_cndmask_b32_e32 v10, v16, v18, vcc_lo
	v_cmp_ne_u32_e32 vcc_lo, 0, v17
	v_and_b32_e32 v17, 7, v4
	v_lshrrev_b32_e32 v4, 2, v4
	v_and_b32_e32 v18, 7, v10
	v_cndmask_b32_e64 v16, 0, 1, vcc_lo
	v_cmp_ne_u32_e32 vcc_lo, 0, v6
	v_cmp_eq_u32_e64 s0, 3, v17
	v_lshrrev_b32_e32 v10, 2, v10
	v_cmp_lt_i32_e64 s1, 5, v18
	v_cmp_eq_u32_e64 s2, 3, v18
	v_cndmask_b32_e64 v6, 0, 1, vcc_lo
	v_cmp_lt_i32_e32 vcc_lo, 5, v17
	v_lshl_or_b32 v16, v16, 9, 0x7c00
	v_lshl_or_b32 v6, v6, 9, 0x7c00
	s_or_b32 vcc_lo, s0, vcc_lo
	v_add_co_ci_u32_e32 v4, vcc_lo, 0, v4, vcc_lo
	s_or_b32 vcc_lo, s2, s1
	v_add_co_ci_u32_e32 v10, vcc_lo, 0, v10, vcc_lo
	v_cmp_gt_i32_e32 vcc_lo, 31, v14
	v_cndmask_b32_e32 v4, 0x7c00, v4, vcc_lo
	v_cmp_gt_i32_e32 vcc_lo, 31, v11
	v_cndmask_b32_e32 v10, 0x7c00, v10, vcc_lo
	v_cmp_eq_u32_e32 vcc_lo, 0x40f, v14
	v_cndmask_b32_e32 v4, v4, v16, vcc_lo
	v_cmp_eq_u32_e32 vcc_lo, 0x40f, v11
	v_cndmask_b32_e32 v6, v10, v6, vcc_lo
	v_and_or_b32 v10, 0x8000, v5, v4
	v_lshlrev_b64 v[4:5], 2, v[8:9]
	v_and_or_b32 v6, 0x8000, v7, v6
	v_and_b32_e32 v7, 0xffff, v10
	v_add_co_u32 v4, vcc_lo, v2, v4
	v_add_co_ci_u32_e32 v5, vcc_lo, v3, v5, vcc_lo
	v_lshl_or_b32 v6, v6, 16, v7
	global_store_dword v[4:5], v6, off
	global_load_dword v6, v[12:13], off offset:740
	ds_read2_b32 v[4:5], v65 offset0:185 offset1:206
	s_waitcnt lgkmcnt(0)
	v_lshrrev_b32_e32 v7, 16, v4
	s_waitcnt vmcnt(0)
	v_mul_f16_sdwa v8, v7, v6 dst_sel:DWORD dst_unused:UNUSED_PAD src0_sel:DWORD src1_sel:WORD_1
	v_mul_f16_sdwa v9, v4, v6 dst_sel:DWORD dst_unused:UNUSED_PAD src0_sel:DWORD src1_sel:WORD_1
	v_fmac_f16_e32 v8, v4, v6
	v_fma_f16 v4, v6, v7, -v9
	v_cvt_f32_f16_e32 v6, v8
	v_cvt_f32_f16_e32 v4, v4
	v_cvt_f64_f32_e32 v[6:7], v6
	v_cvt_f64_f32_e32 v[8:9], v4
	v_mul_f64 v[6:7], v[6:7], s[4:5]
	v_mul_f64 v[8:9], v[8:9], s[4:5]
	v_and_or_b32 v4, 0x1ff, v7, v6
	v_and_or_b32 v8, 0x1ff, v9, v8
	v_lshrrev_b32_e32 v6, 8, v7
	v_bfe_u32 v10, v7, 20, 11
	v_lshrrev_b32_e32 v11, 8, v9
	v_cmp_ne_u32_e32 vcc_lo, 0, v4
	v_bfe_u32 v14, v9, 20, 11
	v_lshrrev_b32_e32 v7, 16, v7
	v_sub_nc_u32_e32 v16, 0x3f1, v10
	v_add_nc_u32_e32 v10, 0xfffffc10, v10
	v_cndmask_b32_e64 v4, 0, 1, vcc_lo
	v_cmp_ne_u32_e32 vcc_lo, 0, v8
	v_lshrrev_b32_e32 v9, 16, v9
	v_and_or_b32 v4, 0xffe, v6, v4
	v_cndmask_b32_e64 v8, 0, 1, vcc_lo
	v_sub_nc_u32_e32 v6, 0x3f1, v14
	v_add_nc_u32_e32 v14, 0xfffffc10, v14
	v_and_or_b32 v8, 0xffe, v11, v8
	v_med3_i32 v11, v16, 0, 13
	v_or_b32_e32 v16, 0x1000, v4
	v_med3_i32 v6, v6, 0, 13
	v_or_b32_e32 v17, 0x1000, v8
	v_lshrrev_b32_e32 v18, v11, v16
	v_lshrrev_b32_e32 v19, v6, v17
	v_lshlrev_b32_e32 v11, v11, v18
	v_lshlrev_b32_e32 v6, v6, v19
	v_cmp_ne_u32_e32 vcc_lo, v11, v16
	v_lshl_or_b32 v16, v10, 12, v4
	v_cndmask_b32_e64 v11, 0, 1, vcc_lo
	v_cmp_ne_u32_e32 vcc_lo, v6, v17
	v_lshl_or_b32 v17, v14, 12, v8
	v_or_b32_e32 v11, v18, v11
	v_cndmask_b32_e64 v6, 0, 1, vcc_lo
	v_cmp_gt_i32_e32 vcc_lo, 1, v10
	v_or_b32_e32 v6, v19, v6
	v_cndmask_b32_e32 v11, v16, v11, vcc_lo
	v_cmp_gt_i32_e32 vcc_lo, 1, v14
	v_and_b32_e32 v16, 7, v11
	v_cndmask_b32_e32 v6, v17, v6, vcc_lo
	v_cmp_ne_u32_e32 vcc_lo, 0, v4
	v_lshrrev_b32_e32 v11, 2, v11
	v_cmp_eq_u32_e64 s0, 3, v16
	v_and_b32_e32 v17, 7, v6
	v_cndmask_b32_e64 v4, 0, 1, vcc_lo
	v_cmp_ne_u32_e32 vcc_lo, 0, v8
	v_lshrrev_b32_e32 v6, 2, v6
	v_cmp_lt_i32_e64 s1, 5, v17
	v_cmp_eq_u32_e64 s2, 3, v17
	v_cndmask_b32_e64 v8, 0, 1, vcc_lo
	v_cmp_lt_i32_e32 vcc_lo, 5, v16
	v_lshl_or_b32 v4, v4, 9, 0x7c00
	v_lshl_or_b32 v8, v8, 9, 0x7c00
	s_or_b32 vcc_lo, s0, vcc_lo
	v_add_co_ci_u32_e32 v11, vcc_lo, 0, v11, vcc_lo
	s_or_b32 vcc_lo, s2, s1
	v_add_co_ci_u32_e32 v6, vcc_lo, 0, v6, vcc_lo
	v_cmp_gt_i32_e32 vcc_lo, 31, v10
	v_cndmask_b32_e32 v11, 0x7c00, v11, vcc_lo
	v_cmp_gt_i32_e32 vcc_lo, 31, v14
	v_cndmask_b32_e32 v6, 0x7c00, v6, vcc_lo
	v_cmp_eq_u32_e32 vcc_lo, 0x40f, v10
	v_cndmask_b32_e32 v4, v11, v4, vcc_lo
	v_cmp_eq_u32_e32 vcc_lo, 0x40f, v14
	v_and_or_b32 v4, 0x8000, v7, v4
	v_cndmask_b32_e32 v6, v6, v8, vcc_lo
	v_add_co_u32 v0, vcc_lo, v0, s10
	v_add_co_ci_u32_e32 v1, vcc_lo, s3, v1, vcc_lo
	v_and_or_b32 v6, 0x8000, v9, v6
	v_and_b32_e32 v4, 0xffff, v4
	v_lshl_or_b32 v4, v6, 16, v4
	v_lshrrev_b32_e32 v6, 16, v5
	global_store_dword v[0:1], v4, off
	global_load_dword v4, v[12:13], off offset:824
	s_waitcnt vmcnt(0)
	v_mul_f16_sdwa v7, v6, v4 dst_sel:DWORD dst_unused:UNUSED_PAD src0_sel:DWORD src1_sel:WORD_1
	v_mul_f16_sdwa v8, v5, v4 dst_sel:DWORD dst_unused:UNUSED_PAD src0_sel:DWORD src1_sel:WORD_1
	v_fmac_f16_e32 v7, v5, v4
	v_fma_f16 v4, v4, v6, -v8
	v_cvt_f32_f16_e32 v5, v7
	v_cvt_f32_f16_e32 v6, v4
	v_cvt_f64_f32_e32 v[4:5], v5
	v_cvt_f64_f32_e32 v[6:7], v6
	v_mul_f64 v[4:5], v[4:5], s[4:5]
	v_mul_f64 v[6:7], v[6:7], s[4:5]
	v_and_or_b32 v4, 0x1ff, v5, v4
	v_and_or_b32 v6, 0x1ff, v7, v6
	v_lshrrev_b32_e32 v8, 8, v5
	v_bfe_u32 v9, v5, 20, 11
	v_lshrrev_b32_e32 v10, 8, v7
	v_cmp_ne_u32_e32 vcc_lo, 0, v4
	v_bfe_u32 v11, v7, 20, 11
	v_lshrrev_b32_e32 v5, 16, v5
	v_sub_nc_u32_e32 v14, 0x3f1, v9
	v_add_nc_u32_e32 v9, 0xfffffc10, v9
	v_cndmask_b32_e64 v4, 0, 1, vcc_lo
	v_cmp_ne_u32_e32 vcc_lo, 0, v6
	v_lshrrev_b32_e32 v7, 16, v7
	v_and_or_b32 v4, 0xffe, v8, v4
	v_cndmask_b32_e64 v6, 0, 1, vcc_lo
	v_sub_nc_u32_e32 v8, 0x3f1, v11
	v_add_nc_u32_e32 v11, 0xfffffc10, v11
	v_and_or_b32 v6, 0xffe, v10, v6
	v_med3_i32 v10, v14, 0, 13
	v_or_b32_e32 v14, 0x1000, v4
	v_med3_i32 v8, v8, 0, 13
	v_or_b32_e32 v16, 0x1000, v6
	v_lshrrev_b32_e32 v17, v10, v14
	v_lshrrev_b32_e32 v18, v8, v16
	v_lshlrev_b32_e32 v10, v10, v17
	v_lshlrev_b32_e32 v8, v8, v18
	v_cmp_ne_u32_e32 vcc_lo, v10, v14
	v_lshl_or_b32 v14, v9, 12, v4
	v_cndmask_b32_e64 v10, 0, 1, vcc_lo
	v_cmp_ne_u32_e32 vcc_lo, v8, v16
	v_lshl_or_b32 v16, v11, 12, v6
	v_or_b32_e32 v10, v17, v10
	v_cndmask_b32_e64 v8, 0, 1, vcc_lo
	v_cmp_gt_i32_e32 vcc_lo, 1, v9
	v_or_b32_e32 v8, v18, v8
	v_cndmask_b32_e32 v10, v14, v10, vcc_lo
	v_cmp_gt_i32_e32 vcc_lo, 1, v11
	v_and_b32_e32 v14, 7, v10
	v_cndmask_b32_e32 v8, v16, v8, vcc_lo
	v_cmp_ne_u32_e32 vcc_lo, 0, v4
	v_lshrrev_b32_e32 v10, 2, v10
	v_cmp_eq_u32_e64 s0, 3, v14
	v_and_b32_e32 v16, 7, v8
	v_cndmask_b32_e64 v4, 0, 1, vcc_lo
	v_cmp_ne_u32_e32 vcc_lo, 0, v6
	v_lshrrev_b32_e32 v8, 2, v8
	v_cmp_lt_i32_e64 s1, 5, v16
	v_cmp_eq_u32_e64 s2, 3, v16
	v_cndmask_b32_e64 v6, 0, 1, vcc_lo
	v_cmp_lt_i32_e32 vcc_lo, 5, v14
	v_lshl_or_b32 v4, v4, 9, 0x7c00
	v_lshl_or_b32 v6, v6, 9, 0x7c00
	s_or_b32 vcc_lo, s0, vcc_lo
	v_add_co_ci_u32_e32 v10, vcc_lo, 0, v10, vcc_lo
	s_or_b32 vcc_lo, s2, s1
	v_add_co_ci_u32_e32 v8, vcc_lo, 0, v8, vcc_lo
	v_cmp_gt_i32_e32 vcc_lo, 31, v9
	v_cndmask_b32_e32 v10, 0x7c00, v10, vcc_lo
	v_cmp_gt_i32_e32 vcc_lo, 31, v11
	v_cndmask_b32_e32 v8, 0x7c00, v8, vcc_lo
	v_cmp_eq_u32_e32 vcc_lo, 0x40f, v9
	v_cndmask_b32_e32 v4, v10, v4, vcc_lo
	v_cmp_eq_u32_e32 vcc_lo, 0x40f, v11
	v_and_or_b32 v4, 0x8000, v5, v4
	v_cndmask_b32_e32 v6, v8, v6, vcc_lo
	v_add_co_u32 v0, vcc_lo, v0, s6
	v_add_co_ci_u32_e32 v1, vcc_lo, s7, v1, vcc_lo
	v_and_or_b32 v5, 0x8000, v7, v6
	v_and_b32_e32 v4, 0xffff, v4
	v_lshl_or_b32 v4, v5, 16, v4
	global_store_dword v[0:1], v4, off
	global_load_dword v6, v[12:13], off offset:908
	ds_read2_b32 v[4:5], v65 offset0:227 offset1:248
	s_waitcnt lgkmcnt(0)
	v_lshrrev_b32_e32 v7, 16, v4
	s_waitcnt vmcnt(0)
	v_mul_f16_sdwa v8, v7, v6 dst_sel:DWORD dst_unused:UNUSED_PAD src0_sel:DWORD src1_sel:WORD_1
	v_mul_f16_sdwa v9, v4, v6 dst_sel:DWORD dst_unused:UNUSED_PAD src0_sel:DWORD src1_sel:WORD_1
	v_fmac_f16_e32 v8, v4, v6
	v_fma_f16 v4, v6, v7, -v9
	v_cvt_f32_f16_e32 v6, v8
	v_cvt_f32_f16_e32 v4, v4
	v_cvt_f64_f32_e32 v[6:7], v6
	v_cvt_f64_f32_e32 v[8:9], v4
	v_mul_f64 v[6:7], v[6:7], s[4:5]
	v_mul_f64 v[8:9], v[8:9], s[4:5]
	v_and_or_b32 v4, 0x1ff, v7, v6
	v_and_or_b32 v8, 0x1ff, v9, v8
	v_lshrrev_b32_e32 v6, 8, v7
	v_bfe_u32 v10, v7, 20, 11
	v_lshrrev_b32_e32 v11, 8, v9
	v_cmp_ne_u32_e32 vcc_lo, 0, v4
	v_bfe_u32 v14, v9, 20, 11
	v_lshrrev_b32_e32 v7, 16, v7
	v_sub_nc_u32_e32 v16, 0x3f1, v10
	v_add_nc_u32_e32 v10, 0xfffffc10, v10
	v_cndmask_b32_e64 v4, 0, 1, vcc_lo
	v_cmp_ne_u32_e32 vcc_lo, 0, v8
	v_lshrrev_b32_e32 v9, 16, v9
	v_and_or_b32 v4, 0xffe, v6, v4
	v_cndmask_b32_e64 v8, 0, 1, vcc_lo
	v_sub_nc_u32_e32 v6, 0x3f1, v14
	v_add_nc_u32_e32 v14, 0xfffffc10, v14
	v_and_or_b32 v8, 0xffe, v11, v8
	v_med3_i32 v11, v16, 0, 13
	v_or_b32_e32 v16, 0x1000, v4
	v_med3_i32 v6, v6, 0, 13
	v_or_b32_e32 v17, 0x1000, v8
	v_lshrrev_b32_e32 v18, v11, v16
	v_lshrrev_b32_e32 v19, v6, v17
	v_lshlrev_b32_e32 v11, v11, v18
	v_lshlrev_b32_e32 v6, v6, v19
	v_cmp_ne_u32_e32 vcc_lo, v11, v16
	v_lshl_or_b32 v16, v10, 12, v4
	v_cndmask_b32_e64 v11, 0, 1, vcc_lo
	v_cmp_ne_u32_e32 vcc_lo, v6, v17
	v_lshl_or_b32 v17, v14, 12, v8
	v_or_b32_e32 v11, v18, v11
	v_cndmask_b32_e64 v6, 0, 1, vcc_lo
	v_cmp_gt_i32_e32 vcc_lo, 1, v10
	v_or_b32_e32 v6, v19, v6
	v_cndmask_b32_e32 v11, v16, v11, vcc_lo
	v_cmp_gt_i32_e32 vcc_lo, 1, v14
	v_and_b32_e32 v16, 7, v11
	v_cndmask_b32_e32 v6, v17, v6, vcc_lo
	v_cmp_ne_u32_e32 vcc_lo, 0, v4
	v_lshrrev_b32_e32 v11, 2, v11
	v_cmp_eq_u32_e64 s0, 3, v16
	v_and_b32_e32 v17, 7, v6
	v_cndmask_b32_e64 v4, 0, 1, vcc_lo
	v_cmp_ne_u32_e32 vcc_lo, 0, v8
	v_lshrrev_b32_e32 v6, 2, v6
	v_cmp_lt_i32_e64 s1, 5, v17
	v_cmp_eq_u32_e64 s2, 3, v17
	v_cndmask_b32_e64 v8, 0, 1, vcc_lo
	v_cmp_lt_i32_e32 vcc_lo, 5, v16
	v_lshl_or_b32 v4, v4, 9, 0x7c00
	v_lshl_or_b32 v8, v8, 9, 0x7c00
	s_or_b32 vcc_lo, s0, vcc_lo
	v_add_co_ci_u32_e32 v11, vcc_lo, 0, v11, vcc_lo
	s_or_b32 vcc_lo, s2, s1
	v_add_co_ci_u32_e32 v6, vcc_lo, 0, v6, vcc_lo
	v_cmp_gt_i32_e32 vcc_lo, 31, v10
	v_cndmask_b32_e32 v11, 0x7c00, v11, vcc_lo
	v_cmp_gt_i32_e32 vcc_lo, 31, v14
	v_cndmask_b32_e32 v6, 0x7c00, v6, vcc_lo
	v_cmp_eq_u32_e32 vcc_lo, 0x40f, v10
	v_cndmask_b32_e32 v4, v11, v4, vcc_lo
	v_cmp_eq_u32_e32 vcc_lo, 0x40f, v14
	v_and_or_b32 v4, 0x8000, v7, v4
	v_cndmask_b32_e32 v6, v6, v8, vcc_lo
	v_add_co_u32 v0, vcc_lo, v0, s6
	v_add_co_ci_u32_e32 v1, vcc_lo, s7, v1, vcc_lo
	v_and_or_b32 v6, 0x8000, v9, v6
	v_and_b32_e32 v4, 0xffff, v4
	v_lshl_or_b32 v4, v6, 16, v4
	v_lshrrev_b32_e32 v6, 16, v5
	global_store_dword v[0:1], v4, off
	global_load_dword v4, v[12:13], off offset:992
	s_waitcnt vmcnt(0)
	v_mul_f16_sdwa v7, v6, v4 dst_sel:DWORD dst_unused:UNUSED_PAD src0_sel:DWORD src1_sel:WORD_1
	v_mul_f16_sdwa v8, v5, v4 dst_sel:DWORD dst_unused:UNUSED_PAD src0_sel:DWORD src1_sel:WORD_1
	v_fmac_f16_e32 v7, v5, v4
	v_fma_f16 v4, v4, v6, -v8
	v_cvt_f32_f16_e32 v5, v7
	v_cvt_f32_f16_e32 v6, v4
	v_cvt_f64_f32_e32 v[4:5], v5
	v_cvt_f64_f32_e32 v[6:7], v6
	v_mul_f64 v[4:5], v[4:5], s[4:5]
	v_mul_f64 v[6:7], v[6:7], s[4:5]
	v_and_or_b32 v4, 0x1ff, v5, v4
	v_and_or_b32 v6, 0x1ff, v7, v6
	v_lshrrev_b32_e32 v8, 8, v5
	v_bfe_u32 v10, v5, 20, 11
	v_bfe_u32 v11, v7, 20, 11
	v_cmp_ne_u32_e32 vcc_lo, 0, v4
	v_lshrrev_b32_e32 v9, 8, v7
	v_lshrrev_b32_e32 v7, 16, v7
	v_sub_nc_u32_e32 v14, 0x3f1, v10
	v_sub_nc_u32_e32 v16, 0x3f1, v11
	v_cndmask_b32_e64 v4, 0, 1, vcc_lo
	v_cmp_ne_u32_e32 vcc_lo, 0, v6
	v_add_nc_u32_e32 v11, 0xfffffc10, v11
	v_and_or_b32 v17, 0xffe, v8, v4
	v_cndmask_b32_e64 v6, 0, 1, vcc_lo
	v_med3_i32 v4, v14, 0, 13
	v_med3_i32 v14, v16, 0, 13
	v_or_b32_e32 v16, 0x1000, v17
	v_and_or_b32 v6, 0xffe, v9, v6
	v_mad_u64_u32 v[8:9], null, s8, v67, 0
	v_lshrrev_b32_e32 v19, v4, v16
	v_or_b32_e32 v18, 0x1000, v6
	v_lshlrev_b32_e32 v21, v4, v19
	v_lshrrev_b32_e32 v20, v14, v18
	v_mov_b32_e32 v4, v9
	v_cmp_ne_u32_e32 vcc_lo, v21, v16
	v_lshlrev_b32_e32 v9, v14, v20
	v_add_nc_u32_e32 v14, 0xfffffc10, v10
	v_cndmask_b32_e64 v16, 0, 1, vcc_lo
	v_cmp_ne_u32_e32 vcc_lo, v9, v18
	v_mad_u64_u32 v[9:10], null, s9, v67, v[4:5]
	v_lshl_or_b32 v4, v14, 12, v17
	v_or_b32_e32 v10, v19, v16
	v_cndmask_b32_e64 v18, 0, 1, vcc_lo
	v_cmp_gt_i32_e32 vcc_lo, 1, v14
	v_lshl_or_b32 v16, v11, 12, v6
	v_lshrrev_b32_e32 v5, 16, v5
	v_or_b32_e32 v18, v20, v18
	v_cndmask_b32_e32 v4, v4, v10, vcc_lo
	v_cmp_gt_i32_e32 vcc_lo, 1, v11
	v_cndmask_b32_e32 v10, v16, v18, vcc_lo
	v_cmp_ne_u32_e32 vcc_lo, 0, v17
	v_and_b32_e32 v17, 7, v4
	v_lshrrev_b32_e32 v4, 2, v4
	v_and_b32_e32 v18, 7, v10
	v_cndmask_b32_e64 v16, 0, 1, vcc_lo
	v_cmp_ne_u32_e32 vcc_lo, 0, v6
	v_cmp_eq_u32_e64 s0, 3, v17
	v_lshrrev_b32_e32 v10, 2, v10
	v_cmp_lt_i32_e64 s1, 5, v18
	v_cmp_eq_u32_e64 s2, 3, v18
	v_cndmask_b32_e64 v6, 0, 1, vcc_lo
	v_cmp_lt_i32_e32 vcc_lo, 5, v17
	v_lshl_or_b32 v16, v16, 9, 0x7c00
	v_lshl_or_b32 v6, v6, 9, 0x7c00
	s_or_b32 vcc_lo, s0, vcc_lo
	v_add_co_ci_u32_e32 v4, vcc_lo, 0, v4, vcc_lo
	s_or_b32 vcc_lo, s2, s1
	v_add_co_ci_u32_e32 v10, vcc_lo, 0, v10, vcc_lo
	v_cmp_gt_i32_e32 vcc_lo, 31, v14
	v_cndmask_b32_e32 v4, 0x7c00, v4, vcc_lo
	v_cmp_gt_i32_e32 vcc_lo, 31, v11
	v_cndmask_b32_e32 v10, 0x7c00, v10, vcc_lo
	v_cmp_eq_u32_e32 vcc_lo, 0x40f, v14
	v_cndmask_b32_e32 v4, v4, v16, vcc_lo
	v_cmp_eq_u32_e32 vcc_lo, 0x40f, v11
	v_cndmask_b32_e32 v6, v10, v6, vcc_lo
	v_and_or_b32 v10, 0x8000, v5, v4
	v_lshlrev_b64 v[4:5], 2, v[8:9]
	v_and_or_b32 v6, 0x8000, v7, v6
	v_and_b32_e32 v7, 0xffff, v10
	v_add_co_u32 v4, vcc_lo, v2, v4
	v_add_co_ci_u32_e32 v5, vcc_lo, v3, v5, vcc_lo
	v_lshl_or_b32 v6, v6, 16, v7
	global_store_dword v[4:5], v6, off
	global_load_dword v6, v[12:13], off offset:1076
	ds_read2_b32 v[4:5], v15 offset0:13 offset1:34
	s_waitcnt lgkmcnt(0)
	v_lshrrev_b32_e32 v7, 16, v4
	s_waitcnt vmcnt(0)
	v_mul_f16_sdwa v8, v7, v6 dst_sel:DWORD dst_unused:UNUSED_PAD src0_sel:DWORD src1_sel:WORD_1
	v_mul_f16_sdwa v9, v4, v6 dst_sel:DWORD dst_unused:UNUSED_PAD src0_sel:DWORD src1_sel:WORD_1
	v_fmac_f16_e32 v8, v4, v6
	v_fma_f16 v4, v6, v7, -v9
	v_cvt_f32_f16_e32 v6, v8
	v_cvt_f32_f16_e32 v4, v4
	v_cvt_f64_f32_e32 v[6:7], v6
	v_cvt_f64_f32_e32 v[8:9], v4
	v_mul_f64 v[6:7], v[6:7], s[4:5]
	v_mul_f64 v[8:9], v[8:9], s[4:5]
	v_and_or_b32 v4, 0x1ff, v7, v6
	v_and_or_b32 v8, 0x1ff, v9, v8
	v_lshrrev_b32_e32 v6, 8, v7
	v_bfe_u32 v10, v7, 20, 11
	v_lshrrev_b32_e32 v11, 8, v9
	v_cmp_ne_u32_e32 vcc_lo, 0, v4
	v_bfe_u32 v14, v9, 20, 11
	v_lshrrev_b32_e32 v7, 16, v7
	v_sub_nc_u32_e32 v16, 0x3f1, v10
	v_add_nc_u32_e32 v10, 0xfffffc10, v10
	v_cndmask_b32_e64 v4, 0, 1, vcc_lo
	v_cmp_ne_u32_e32 vcc_lo, 0, v8
	v_lshrrev_b32_e32 v9, 16, v9
	v_and_or_b32 v4, 0xffe, v6, v4
	v_cndmask_b32_e64 v8, 0, 1, vcc_lo
	v_sub_nc_u32_e32 v6, 0x3f1, v14
	v_add_nc_u32_e32 v14, 0xfffffc10, v14
	v_and_or_b32 v8, 0xffe, v11, v8
	v_med3_i32 v11, v16, 0, 13
	v_or_b32_e32 v16, 0x1000, v4
	v_med3_i32 v6, v6, 0, 13
	v_or_b32_e32 v17, 0x1000, v8
	v_lshrrev_b32_e32 v18, v11, v16
	v_lshrrev_b32_e32 v19, v6, v17
	v_lshlrev_b32_e32 v11, v11, v18
	v_lshlrev_b32_e32 v6, v6, v19
	v_cmp_ne_u32_e32 vcc_lo, v11, v16
	v_lshl_or_b32 v16, v10, 12, v4
	v_cndmask_b32_e64 v11, 0, 1, vcc_lo
	v_cmp_ne_u32_e32 vcc_lo, v6, v17
	v_lshl_or_b32 v17, v14, 12, v8
	v_or_b32_e32 v11, v18, v11
	v_cndmask_b32_e64 v6, 0, 1, vcc_lo
	v_cmp_gt_i32_e32 vcc_lo, 1, v10
	v_or_b32_e32 v6, v19, v6
	v_cndmask_b32_e32 v11, v16, v11, vcc_lo
	v_cmp_gt_i32_e32 vcc_lo, 1, v14
	v_and_b32_e32 v16, 7, v11
	v_cndmask_b32_e32 v6, v17, v6, vcc_lo
	v_cmp_ne_u32_e32 vcc_lo, 0, v4
	v_lshrrev_b32_e32 v11, 2, v11
	v_cmp_eq_u32_e64 s0, 3, v16
	v_and_b32_e32 v17, 7, v6
	v_cndmask_b32_e64 v4, 0, 1, vcc_lo
	v_cmp_ne_u32_e32 vcc_lo, 0, v8
	v_lshrrev_b32_e32 v6, 2, v6
	v_cmp_lt_i32_e64 s1, 5, v17
	v_cmp_eq_u32_e64 s2, 3, v17
	v_cndmask_b32_e64 v8, 0, 1, vcc_lo
	v_cmp_lt_i32_e32 vcc_lo, 5, v16
	v_lshl_or_b32 v4, v4, 9, 0x7c00
	v_lshl_or_b32 v8, v8, 9, 0x7c00
	s_or_b32 vcc_lo, s0, vcc_lo
	v_add_co_ci_u32_e32 v11, vcc_lo, 0, v11, vcc_lo
	s_or_b32 vcc_lo, s2, s1
	v_add_co_ci_u32_e32 v6, vcc_lo, 0, v6, vcc_lo
	v_cmp_gt_i32_e32 vcc_lo, 31, v10
	v_cndmask_b32_e32 v11, 0x7c00, v11, vcc_lo
	v_cmp_gt_i32_e32 vcc_lo, 31, v14
	v_cndmask_b32_e32 v6, 0x7c00, v6, vcc_lo
	v_cmp_eq_u32_e32 vcc_lo, 0x40f, v10
	v_cndmask_b32_e32 v4, v11, v4, vcc_lo
	v_cmp_eq_u32_e32 vcc_lo, 0x40f, v14
	v_and_or_b32 v4, 0x8000, v7, v4
	v_cndmask_b32_e32 v6, v6, v8, vcc_lo
	v_add_co_u32 v0, vcc_lo, v0, s10
	v_add_co_ci_u32_e32 v1, vcc_lo, s3, v1, vcc_lo
	v_and_or_b32 v6, 0x8000, v9, v6
	v_and_b32_e32 v4, 0xffff, v4
	v_lshl_or_b32 v4, v6, 16, v4
	v_lshrrev_b32_e32 v6, 16, v5
	global_store_dword v[0:1], v4, off
	global_load_dword v4, v[12:13], off offset:1160
	s_waitcnt vmcnt(0)
	v_mul_f16_sdwa v7, v6, v4 dst_sel:DWORD dst_unused:UNUSED_PAD src0_sel:DWORD src1_sel:WORD_1
	v_mul_f16_sdwa v8, v5, v4 dst_sel:DWORD dst_unused:UNUSED_PAD src0_sel:DWORD src1_sel:WORD_1
	v_fmac_f16_e32 v7, v5, v4
	v_fma_f16 v4, v4, v6, -v8
	v_cvt_f32_f16_e32 v5, v7
	v_cvt_f32_f16_e32 v6, v4
	v_cvt_f64_f32_e32 v[4:5], v5
	v_cvt_f64_f32_e32 v[6:7], v6
	v_mul_f64 v[4:5], v[4:5], s[4:5]
	v_mul_f64 v[6:7], v[6:7], s[4:5]
	v_and_or_b32 v4, 0x1ff, v5, v4
	v_and_or_b32 v6, 0x1ff, v7, v6
	v_lshrrev_b32_e32 v8, 8, v5
	v_bfe_u32 v9, v5, 20, 11
	v_lshrrev_b32_e32 v10, 8, v7
	v_cmp_ne_u32_e32 vcc_lo, 0, v4
	v_bfe_u32 v11, v7, 20, 11
	v_lshrrev_b32_e32 v5, 16, v5
	v_sub_nc_u32_e32 v14, 0x3f1, v9
	v_add_nc_u32_e32 v9, 0xfffffc10, v9
	v_cndmask_b32_e64 v4, 0, 1, vcc_lo
	v_cmp_ne_u32_e32 vcc_lo, 0, v6
	v_lshrrev_b32_e32 v7, 16, v7
	v_and_or_b32 v4, 0xffe, v8, v4
	v_cndmask_b32_e64 v6, 0, 1, vcc_lo
	v_sub_nc_u32_e32 v8, 0x3f1, v11
	v_add_nc_u32_e32 v11, 0xfffffc10, v11
	v_and_or_b32 v6, 0xffe, v10, v6
	v_med3_i32 v10, v14, 0, 13
	v_or_b32_e32 v14, 0x1000, v4
	v_med3_i32 v8, v8, 0, 13
	v_or_b32_e32 v16, 0x1000, v6
	v_lshrrev_b32_e32 v17, v10, v14
	v_lshrrev_b32_e32 v18, v8, v16
	v_lshlrev_b32_e32 v10, v10, v17
	v_lshlrev_b32_e32 v8, v8, v18
	v_cmp_ne_u32_e32 vcc_lo, v10, v14
	v_lshl_or_b32 v14, v9, 12, v4
	v_cndmask_b32_e64 v10, 0, 1, vcc_lo
	v_cmp_ne_u32_e32 vcc_lo, v8, v16
	v_lshl_or_b32 v16, v11, 12, v6
	v_or_b32_e32 v10, v17, v10
	v_cndmask_b32_e64 v8, 0, 1, vcc_lo
	v_cmp_gt_i32_e32 vcc_lo, 1, v9
	v_or_b32_e32 v8, v18, v8
	v_cndmask_b32_e32 v10, v14, v10, vcc_lo
	v_cmp_gt_i32_e32 vcc_lo, 1, v11
	v_and_b32_e32 v14, 7, v10
	v_cndmask_b32_e32 v8, v16, v8, vcc_lo
	v_cmp_ne_u32_e32 vcc_lo, 0, v4
	v_lshrrev_b32_e32 v10, 2, v10
	v_cmp_eq_u32_e64 s0, 3, v14
	v_and_b32_e32 v16, 7, v8
	v_cndmask_b32_e64 v4, 0, 1, vcc_lo
	v_cmp_ne_u32_e32 vcc_lo, 0, v6
	v_lshrrev_b32_e32 v8, 2, v8
	v_cmp_lt_i32_e64 s1, 5, v16
	v_cmp_eq_u32_e64 s2, 3, v16
	v_cndmask_b32_e64 v6, 0, 1, vcc_lo
	v_cmp_lt_i32_e32 vcc_lo, 5, v14
	v_lshl_or_b32 v4, v4, 9, 0x7c00
	v_lshl_or_b32 v6, v6, 9, 0x7c00
	s_or_b32 vcc_lo, s0, vcc_lo
	v_add_co_ci_u32_e32 v10, vcc_lo, 0, v10, vcc_lo
	s_or_b32 vcc_lo, s2, s1
	v_add_co_ci_u32_e32 v8, vcc_lo, 0, v8, vcc_lo
	v_cmp_gt_i32_e32 vcc_lo, 31, v9
	v_cndmask_b32_e32 v10, 0x7c00, v10, vcc_lo
	v_cmp_gt_i32_e32 vcc_lo, 31, v11
	v_cndmask_b32_e32 v8, 0x7c00, v8, vcc_lo
	v_cmp_eq_u32_e32 vcc_lo, 0x40f, v9
	v_cndmask_b32_e32 v4, v10, v4, vcc_lo
	v_cmp_eq_u32_e32 vcc_lo, 0x40f, v11
	v_and_or_b32 v4, 0x8000, v5, v4
	v_cndmask_b32_e32 v6, v8, v6, vcc_lo
	v_add_co_u32 v0, vcc_lo, v0, s6
	v_add_co_ci_u32_e32 v1, vcc_lo, s7, v1, vcc_lo
	v_and_or_b32 v5, 0x8000, v7, v6
	v_and_b32_e32 v4, 0xffff, v4
	v_lshl_or_b32 v4, v5, 16, v4
	global_store_dword v[0:1], v4, off
	global_load_dword v6, v[12:13], off offset:1244
	ds_read2_b32 v[4:5], v15 offset0:55 offset1:76
	s_waitcnt lgkmcnt(0)
	v_lshrrev_b32_e32 v7, 16, v4
	s_waitcnt vmcnt(0)
	v_mul_f16_sdwa v8, v7, v6 dst_sel:DWORD dst_unused:UNUSED_PAD src0_sel:DWORD src1_sel:WORD_1
	v_mul_f16_sdwa v9, v4, v6 dst_sel:DWORD dst_unused:UNUSED_PAD src0_sel:DWORD src1_sel:WORD_1
	v_fmac_f16_e32 v8, v4, v6
	v_fma_f16 v4, v6, v7, -v9
	v_cvt_f32_f16_e32 v6, v8
	v_cvt_f32_f16_e32 v4, v4
	v_cvt_f64_f32_e32 v[6:7], v6
	v_cvt_f64_f32_e32 v[8:9], v4
	v_mul_f64 v[6:7], v[6:7], s[4:5]
	v_mul_f64 v[8:9], v[8:9], s[4:5]
	v_and_or_b32 v4, 0x1ff, v7, v6
	v_and_or_b32 v8, 0x1ff, v9, v8
	v_lshrrev_b32_e32 v6, 8, v7
	v_bfe_u32 v10, v7, 20, 11
	v_lshrrev_b32_e32 v11, 8, v9
	v_cmp_ne_u32_e32 vcc_lo, 0, v4
	v_bfe_u32 v14, v9, 20, 11
	v_lshrrev_b32_e32 v7, 16, v7
	v_sub_nc_u32_e32 v15, 0x3f1, v10
	v_add_nc_u32_e32 v10, 0xfffffc10, v10
	v_cndmask_b32_e64 v4, 0, 1, vcc_lo
	v_cmp_ne_u32_e32 vcc_lo, 0, v8
	v_lshrrev_b32_e32 v9, 16, v9
	v_and_or_b32 v4, 0xffe, v6, v4
	v_cndmask_b32_e64 v8, 0, 1, vcc_lo
	v_sub_nc_u32_e32 v6, 0x3f1, v14
	v_add_nc_u32_e32 v14, 0xfffffc10, v14
	v_and_or_b32 v8, 0xffe, v11, v8
	v_med3_i32 v11, v15, 0, 13
	v_or_b32_e32 v15, 0x1000, v4
	v_med3_i32 v6, v6, 0, 13
	v_or_b32_e32 v16, 0x1000, v8
	v_lshrrev_b32_e32 v17, v11, v15
	v_lshrrev_b32_e32 v18, v6, v16
	v_lshlrev_b32_e32 v11, v11, v17
	v_lshlrev_b32_e32 v6, v6, v18
	v_cmp_ne_u32_e32 vcc_lo, v11, v15
	v_lshl_or_b32 v15, v10, 12, v4
	v_cndmask_b32_e64 v11, 0, 1, vcc_lo
	v_cmp_ne_u32_e32 vcc_lo, v6, v16
	v_lshl_or_b32 v16, v14, 12, v8
	v_or_b32_e32 v11, v17, v11
	v_cndmask_b32_e64 v6, 0, 1, vcc_lo
	v_cmp_gt_i32_e32 vcc_lo, 1, v10
	v_or_b32_e32 v6, v18, v6
	v_cndmask_b32_e32 v11, v15, v11, vcc_lo
	v_cmp_gt_i32_e32 vcc_lo, 1, v14
	v_and_b32_e32 v15, 7, v11
	v_cndmask_b32_e32 v6, v16, v6, vcc_lo
	v_cmp_ne_u32_e32 vcc_lo, 0, v4
	v_lshrrev_b32_e32 v11, 2, v11
	v_cmp_eq_u32_e64 s0, 3, v15
	v_and_b32_e32 v16, 7, v6
	v_cndmask_b32_e64 v4, 0, 1, vcc_lo
	v_cmp_ne_u32_e32 vcc_lo, 0, v8
	v_lshrrev_b32_e32 v6, 2, v6
	v_cmp_lt_i32_e64 s1, 5, v16
	v_cmp_eq_u32_e64 s2, 3, v16
	v_cndmask_b32_e64 v8, 0, 1, vcc_lo
	v_cmp_lt_i32_e32 vcc_lo, 5, v15
	v_lshl_or_b32 v4, v4, 9, 0x7c00
	v_lshl_or_b32 v8, v8, 9, 0x7c00
	s_or_b32 vcc_lo, s0, vcc_lo
	v_add_co_ci_u32_e32 v11, vcc_lo, 0, v11, vcc_lo
	s_or_b32 vcc_lo, s2, s1
	v_add_co_ci_u32_e32 v6, vcc_lo, 0, v6, vcc_lo
	v_cmp_gt_i32_e32 vcc_lo, 31, v10
	v_cndmask_b32_e32 v11, 0x7c00, v11, vcc_lo
	v_cmp_gt_i32_e32 vcc_lo, 31, v14
	v_cndmask_b32_e32 v6, 0x7c00, v6, vcc_lo
	v_cmp_eq_u32_e32 vcc_lo, 0x40f, v10
	v_cndmask_b32_e32 v4, v11, v4, vcc_lo
	v_cmp_eq_u32_e32 vcc_lo, 0x40f, v14
	v_and_or_b32 v4, 0x8000, v7, v4
	v_cndmask_b32_e32 v6, v6, v8, vcc_lo
	v_add_co_u32 v0, vcc_lo, v0, s6
	v_add_co_ci_u32_e32 v1, vcc_lo, s7, v1, vcc_lo
	v_and_or_b32 v6, 0x8000, v9, v6
	v_and_b32_e32 v4, 0xffff, v4
	v_lshl_or_b32 v4, v6, 16, v4
	v_lshrrev_b32_e32 v6, 16, v5
	global_store_dword v[0:1], v4, off
	global_load_dword v4, v[12:13], off offset:1328
	s_waitcnt vmcnt(0)
	v_mul_f16_sdwa v7, v6, v4 dst_sel:DWORD dst_unused:UNUSED_PAD src0_sel:DWORD src1_sel:WORD_1
	v_mul_f16_sdwa v8, v5, v4 dst_sel:DWORD dst_unused:UNUSED_PAD src0_sel:DWORD src1_sel:WORD_1
	v_fmac_f16_e32 v7, v5, v4
	v_fma_f16 v4, v4, v6, -v8
	v_cvt_f32_f16_e32 v5, v7
	v_cvt_f32_f16_e32 v6, v4
	v_cvt_f64_f32_e32 v[4:5], v5
	v_cvt_f64_f32_e32 v[6:7], v6
	v_mul_f64 v[4:5], v[4:5], s[4:5]
	v_mul_f64 v[6:7], v[6:7], s[4:5]
	v_and_or_b32 v4, 0x1ff, v5, v4
	v_and_or_b32 v6, 0x1ff, v7, v6
	v_lshrrev_b32_e32 v8, 8, v5
	v_bfe_u32 v10, v5, 20, 11
	v_bfe_u32 v11, v7, 20, 11
	v_cmp_ne_u32_e32 vcc_lo, 0, v4
	v_lshrrev_b32_e32 v9, 8, v7
	v_lshrrev_b32_e32 v7, 16, v7
	v_sub_nc_u32_e32 v14, 0x3f1, v10
	v_sub_nc_u32_e32 v15, 0x3f1, v11
	v_cndmask_b32_e64 v4, 0, 1, vcc_lo
	v_cmp_ne_u32_e32 vcc_lo, 0, v6
	v_add_nc_u32_e32 v11, 0xfffffc10, v11
	v_and_or_b32 v16, 0xffe, v8, v4
	v_cndmask_b32_e64 v6, 0, 1, vcc_lo
	v_med3_i32 v4, v14, 0, 13
	v_med3_i32 v14, v15, 0, 13
	v_or_b32_e32 v15, 0x1000, v16
	v_and_or_b32 v6, 0xffe, v9, v6
	v_mad_u64_u32 v[8:9], null, s8, v66, 0
	v_lshrrev_b32_e32 v18, v4, v15
	v_or_b32_e32 v17, 0x1000, v6
	v_lshlrev_b32_e32 v20, v4, v18
	v_lshrrev_b32_e32 v19, v14, v17
	v_mov_b32_e32 v4, v9
	v_cmp_ne_u32_e32 vcc_lo, v20, v15
	v_lshlrev_b32_e32 v9, v14, v19
	v_add_nc_u32_e32 v14, 0xfffffc10, v10
	v_cndmask_b32_e64 v15, 0, 1, vcc_lo
	v_cmp_ne_u32_e32 vcc_lo, v9, v17
	v_mad_u64_u32 v[9:10], null, s9, v66, v[4:5]
	v_lshl_or_b32 v4, v14, 12, v16
	v_or_b32_e32 v10, v18, v15
	v_cndmask_b32_e64 v17, 0, 1, vcc_lo
	v_cmp_gt_i32_e32 vcc_lo, 1, v14
	v_lshl_or_b32 v15, v11, 12, v6
	v_lshrrev_b32_e32 v5, 16, v5
	v_or_b32_e32 v17, v19, v17
	v_cndmask_b32_e32 v4, v4, v10, vcc_lo
	v_cmp_gt_i32_e32 vcc_lo, 1, v11
	v_cndmask_b32_e32 v10, v15, v17, vcc_lo
	v_cmp_ne_u32_e32 vcc_lo, 0, v16
	v_and_b32_e32 v16, 7, v4
	v_lshrrev_b32_e32 v4, 2, v4
	v_and_b32_e32 v17, 7, v10
	v_cndmask_b32_e64 v15, 0, 1, vcc_lo
	v_cmp_ne_u32_e32 vcc_lo, 0, v6
	v_cmp_eq_u32_e64 s0, 3, v16
	v_lshrrev_b32_e32 v10, 2, v10
	v_cmp_lt_i32_e64 s1, 5, v17
	v_cmp_eq_u32_e64 s2, 3, v17
	v_cndmask_b32_e64 v6, 0, 1, vcc_lo
	v_cmp_lt_i32_e32 vcc_lo, 5, v16
	v_lshl_or_b32 v15, v15, 9, 0x7c00
	v_lshl_or_b32 v6, v6, 9, 0x7c00
	s_or_b32 vcc_lo, s0, vcc_lo
	v_add_co_ci_u32_e32 v4, vcc_lo, 0, v4, vcc_lo
	s_or_b32 vcc_lo, s2, s1
	v_add_co_ci_u32_e32 v10, vcc_lo, 0, v10, vcc_lo
	v_cmp_gt_i32_e32 vcc_lo, 31, v14
	v_cndmask_b32_e32 v4, 0x7c00, v4, vcc_lo
	v_cmp_gt_i32_e32 vcc_lo, 31, v11
	v_cndmask_b32_e32 v10, 0x7c00, v10, vcc_lo
	v_cmp_eq_u32_e32 vcc_lo, 0x40f, v14
	v_cndmask_b32_e32 v4, v4, v15, vcc_lo
	v_cmp_eq_u32_e32 vcc_lo, 0x40f, v11
	v_cndmask_b32_e32 v6, v10, v6, vcc_lo
	v_and_or_b32 v10, 0x8000, v5, v4
	v_lshlrev_b64 v[4:5], 2, v[8:9]
	v_and_or_b32 v6, 0x8000, v7, v6
	v_and_b32_e32 v7, 0xffff, v10
	v_add_co_u32 v2, vcc_lo, v2, v4
	v_add_co_ci_u32_e32 v3, vcc_lo, v3, v5, vcc_lo
	v_lshl_or_b32 v4, v6, 16, v7
	global_store_dword v[2:3], v4, off
	global_load_dword v2, v[12:13], off offset:1412
	ds_read_b32 v3, v65 offset:1412
	s_waitcnt lgkmcnt(0)
	v_lshrrev_b32_e32 v4, 16, v3
	s_waitcnt vmcnt(0)
	v_mul_f16_sdwa v5, v4, v2 dst_sel:DWORD dst_unused:UNUSED_PAD src0_sel:DWORD src1_sel:WORD_1
	v_mul_f16_sdwa v6, v3, v2 dst_sel:DWORD dst_unused:UNUSED_PAD src0_sel:DWORD src1_sel:WORD_1
	v_fmac_f16_e32 v5, v3, v2
	v_fma_f16 v2, v2, v4, -v6
	v_cvt_f32_f16_e32 v3, v5
	v_cvt_f32_f16_e32 v4, v2
	v_cvt_f64_f32_e32 v[2:3], v3
	v_cvt_f64_f32_e32 v[4:5], v4
	v_mul_f64 v[2:3], v[2:3], s[4:5]
	v_mul_f64 v[4:5], v[4:5], s[4:5]
	v_and_or_b32 v2, 0x1ff, v3, v2
	v_and_or_b32 v4, 0x1ff, v5, v4
	v_lshrrev_b32_e32 v6, 8, v3
	v_bfe_u32 v7, v3, 20, 11
	v_lshrrev_b32_e32 v8, 8, v5
	v_cmp_ne_u32_e32 vcc_lo, 0, v2
	v_bfe_u32 v9, v5, 20, 11
	v_lshrrev_b32_e32 v3, 16, v3
	v_sub_nc_u32_e32 v10, 0x3f1, v7
	v_add_nc_u32_e32 v7, 0xfffffc10, v7
	v_cndmask_b32_e64 v2, 0, 1, vcc_lo
	v_cmp_ne_u32_e32 vcc_lo, 0, v4
	v_lshrrev_b32_e32 v5, 16, v5
	v_and_or_b32 v2, 0xffe, v6, v2
	v_cndmask_b32_e64 v4, 0, 1, vcc_lo
	v_sub_nc_u32_e32 v6, 0x3f1, v9
	v_add_nc_u32_e32 v9, 0xfffffc10, v9
	v_and_or_b32 v4, 0xffe, v8, v4
	v_med3_i32 v8, v10, 0, 13
	v_or_b32_e32 v10, 0x1000, v2
	v_med3_i32 v6, v6, 0, 13
	v_or_b32_e32 v11, 0x1000, v4
	v_lshrrev_b32_e32 v12, v8, v10
	v_lshrrev_b32_e32 v13, v6, v11
	v_lshlrev_b32_e32 v8, v8, v12
	v_lshlrev_b32_e32 v6, v6, v13
	v_cmp_ne_u32_e32 vcc_lo, v8, v10
	v_lshl_or_b32 v10, v7, 12, v2
	v_cndmask_b32_e64 v8, 0, 1, vcc_lo
	v_cmp_ne_u32_e32 vcc_lo, v6, v11
	v_lshl_or_b32 v11, v9, 12, v4
	v_or_b32_e32 v8, v12, v8
	v_cndmask_b32_e64 v6, 0, 1, vcc_lo
	v_cmp_gt_i32_e32 vcc_lo, 1, v7
	v_or_b32_e32 v6, v13, v6
	v_cndmask_b32_e32 v8, v10, v8, vcc_lo
	v_cmp_gt_i32_e32 vcc_lo, 1, v9
	v_and_b32_e32 v10, 7, v8
	v_cndmask_b32_e32 v6, v11, v6, vcc_lo
	v_cmp_ne_u32_e32 vcc_lo, 0, v2
	v_lshrrev_b32_e32 v8, 2, v8
	v_cmp_eq_u32_e64 s0, 3, v10
	v_and_b32_e32 v11, 7, v6
	v_cndmask_b32_e64 v2, 0, 1, vcc_lo
	v_cmp_ne_u32_e32 vcc_lo, 0, v4
	v_lshrrev_b32_e32 v6, 2, v6
	v_cmp_lt_i32_e64 s1, 5, v11
	v_cmp_eq_u32_e64 s2, 3, v11
	v_cndmask_b32_e64 v4, 0, 1, vcc_lo
	v_cmp_lt_i32_e32 vcc_lo, 5, v10
	v_lshl_or_b32 v2, v2, 9, 0x7c00
	v_lshl_or_b32 v4, v4, 9, 0x7c00
	s_or_b32 vcc_lo, s0, vcc_lo
	v_add_co_ci_u32_e32 v8, vcc_lo, 0, v8, vcc_lo
	s_or_b32 vcc_lo, s2, s1
	v_add_co_ci_u32_e32 v6, vcc_lo, 0, v6, vcc_lo
	v_cmp_gt_i32_e32 vcc_lo, 31, v7
	v_cndmask_b32_e32 v8, 0x7c00, v8, vcc_lo
	v_cmp_gt_i32_e32 vcc_lo, 31, v9
	v_cndmask_b32_e32 v6, 0x7c00, v6, vcc_lo
	v_cmp_eq_u32_e32 vcc_lo, 0x40f, v7
	v_cndmask_b32_e32 v2, v8, v2, vcc_lo
	v_cmp_eq_u32_e32 vcc_lo, 0x40f, v9
	v_and_or_b32 v2, 0x8000, v3, v2
	v_cndmask_b32_e32 v4, v6, v4, vcc_lo
	v_add_co_u32 v0, vcc_lo, v0, s10
	v_add_co_ci_u32_e32 v1, vcc_lo, s3, v1, vcc_lo
	v_and_or_b32 v3, 0x8000, v5, v4
	v_and_b32_e32 v2, 0xffff, v2
	v_lshl_or_b32 v2, v3, 16, v2
	global_store_dword v[0:1], v2, off
.LBB0_15:
	s_endpgm
	.section	.rodata,"a",@progbits
	.p2align	6, 0x0
	.amdhsa_kernel bluestein_single_back_len357_dim1_half_op_CI_CI
		.amdhsa_group_segment_fixed_size 15708
		.amdhsa_private_segment_fixed_size 0
		.amdhsa_kernarg_size 104
		.amdhsa_user_sgpr_count 6
		.amdhsa_user_sgpr_private_segment_buffer 1
		.amdhsa_user_sgpr_dispatch_ptr 0
		.amdhsa_user_sgpr_queue_ptr 0
		.amdhsa_user_sgpr_kernarg_segment_ptr 1
		.amdhsa_user_sgpr_dispatch_id 0
		.amdhsa_user_sgpr_flat_scratch_init 0
		.amdhsa_user_sgpr_private_segment_size 0
		.amdhsa_wavefront_size32 1
		.amdhsa_uses_dynamic_stack 0
		.amdhsa_system_sgpr_private_segment_wavefront_offset 0
		.amdhsa_system_sgpr_workgroup_id_x 1
		.amdhsa_system_sgpr_workgroup_id_y 0
		.amdhsa_system_sgpr_workgroup_id_z 0
		.amdhsa_system_sgpr_workgroup_info 0
		.amdhsa_system_vgpr_workitem_id 0
		.amdhsa_next_free_vgpr 253
		.amdhsa_next_free_sgpr 19
		.amdhsa_reserve_vcc 1
		.amdhsa_reserve_flat_scratch 0
		.amdhsa_float_round_mode_32 0
		.amdhsa_float_round_mode_16_64 0
		.amdhsa_float_denorm_mode_32 3
		.amdhsa_float_denorm_mode_16_64 3
		.amdhsa_dx10_clamp 1
		.amdhsa_ieee_mode 1
		.amdhsa_fp16_overflow 0
		.amdhsa_workgroup_processor_mode 1
		.amdhsa_memory_ordered 1
		.amdhsa_forward_progress 0
		.amdhsa_shared_vgpr_count 0
		.amdhsa_exception_fp_ieee_invalid_op 0
		.amdhsa_exception_fp_denorm_src 0
		.amdhsa_exception_fp_ieee_div_zero 0
		.amdhsa_exception_fp_ieee_overflow 0
		.amdhsa_exception_fp_ieee_underflow 0
		.amdhsa_exception_fp_ieee_inexact 0
		.amdhsa_exception_int_div_zero 0
	.end_amdhsa_kernel
	.text
.Lfunc_end0:
	.size	bluestein_single_back_len357_dim1_half_op_CI_CI, .Lfunc_end0-bluestein_single_back_len357_dim1_half_op_CI_CI
                                        ; -- End function
	.section	.AMDGPU.csdata,"",@progbits
; Kernel info:
; codeLenInByte = 55208
; NumSgprs: 21
; NumVgprs: 253
; ScratchSize: 0
; MemoryBound: 0
; FloatMode: 240
; IeeeMode: 1
; LDSByteSize: 15708 bytes/workgroup (compile time only)
; SGPRBlocks: 2
; VGPRBlocks: 31
; NumSGPRsForWavesPerEU: 21
; NumVGPRsForWavesPerEU: 253
; Occupancy: 4
; WaveLimiterHint : 1
; COMPUTE_PGM_RSRC2:SCRATCH_EN: 0
; COMPUTE_PGM_RSRC2:USER_SGPR: 6
; COMPUTE_PGM_RSRC2:TRAP_HANDLER: 0
; COMPUTE_PGM_RSRC2:TGID_X_EN: 1
; COMPUTE_PGM_RSRC2:TGID_Y_EN: 0
; COMPUTE_PGM_RSRC2:TGID_Z_EN: 0
; COMPUTE_PGM_RSRC2:TIDIG_COMP_CNT: 0
	.text
	.p2alignl 6, 3214868480
	.fill 48, 4, 3214868480
	.type	__hip_cuid_87d387cae39dfe0f,@object ; @__hip_cuid_87d387cae39dfe0f
	.section	.bss,"aw",@nobits
	.globl	__hip_cuid_87d387cae39dfe0f
__hip_cuid_87d387cae39dfe0f:
	.byte	0                               ; 0x0
	.size	__hip_cuid_87d387cae39dfe0f, 1

	.ident	"AMD clang version 19.0.0git (https://github.com/RadeonOpenCompute/llvm-project roc-6.4.0 25133 c7fe45cf4b819c5991fe208aaa96edf142730f1d)"
	.section	".note.GNU-stack","",@progbits
	.addrsig
	.addrsig_sym __hip_cuid_87d387cae39dfe0f
	.amdgpu_metadata
---
amdhsa.kernels:
  - .args:
      - .actual_access:  read_only
        .address_space:  global
        .offset:         0
        .size:           8
        .value_kind:     global_buffer
      - .actual_access:  read_only
        .address_space:  global
        .offset:         8
        .size:           8
        .value_kind:     global_buffer
      - .actual_access:  read_only
        .address_space:  global
        .offset:         16
        .size:           8
        .value_kind:     global_buffer
      - .actual_access:  read_only
        .address_space:  global
        .offset:         24
        .size:           8
        .value_kind:     global_buffer
      - .actual_access:  read_only
        .address_space:  global
        .offset:         32
        .size:           8
        .value_kind:     global_buffer
      - .offset:         40
        .size:           8
        .value_kind:     by_value
      - .address_space:  global
        .offset:         48
        .size:           8
        .value_kind:     global_buffer
      - .address_space:  global
        .offset:         56
        .size:           8
        .value_kind:     global_buffer
      - .address_space:  global
        .offset:         64
        .size:           8
        .value_kind:     global_buffer
      - .address_space:  global
        .offset:         72
        .size:           8
        .value_kind:     global_buffer
      - .offset:         80
        .size:           4
        .value_kind:     by_value
      - .address_space:  global
        .offset:         88
        .size:           8
        .value_kind:     global_buffer
      - .address_space:  global
        .offset:         96
        .size:           8
        .value_kind:     global_buffer
    .group_segment_fixed_size: 15708
    .kernarg_segment_align: 8
    .kernarg_segment_size: 104
    .language:       OpenCL C
    .language_version:
      - 2
      - 0
    .max_flat_workgroup_size: 187
    .name:           bluestein_single_back_len357_dim1_half_op_CI_CI
    .private_segment_fixed_size: 0
    .sgpr_count:     21
    .sgpr_spill_count: 0
    .symbol:         bluestein_single_back_len357_dim1_half_op_CI_CI.kd
    .uniform_work_group_size: 1
    .uses_dynamic_stack: false
    .vgpr_count:     253
    .vgpr_spill_count: 0
    .wavefront_size: 32
    .workgroup_processor_mode: 1
amdhsa.target:   amdgcn-amd-amdhsa--gfx1030
amdhsa.version:
  - 1
  - 2
...

	.end_amdgpu_metadata
